;; amdgpu-corpus repo=ROCm/hip-tests kind=compiled arch=gfx906 opt=O3
	.amdgcn_target "amdgcn-amd-amdhsa--gfx906"
	.amdhsa_code_object_version 6
	.text
	.protected	_Z16kernel_shfl_downPiS_ii ; -- Begin function _Z16kernel_shfl_downPiS_ii
	.globl	_Z16kernel_shfl_downPiS_ii
	.p2align	8
	.type	_Z16kernel_shfl_downPiS_ii,@function
_Z16kernel_shfl_downPiS_ii:             ; @_Z16kernel_shfl_downPiS_ii
; %bb.0:
	s_load_dwordx2 s[8:9], s[4:5], 0x10
	s_load_dword s0, s[4:5], 0x24
	s_waitcnt lgkmcnt(0)
	s_abs_i32 s1, s9
	v_cvt_f32_u32_e32 v1, s1
	s_sub_i32 s2, 0, s1
	s_and_b32 s0, s0, 0xffff
	s_mul_i32 s6, s6, s0
	v_rcp_iflag_f32_e32 v1, v1
	v_add_u32_e32 v0, s6, v0
	v_sub_u32_e32 v3, 0, v0
	v_max_i32_e32 v3, v0, v3
	v_mul_f32_e32 v1, 0x4f7ffffe, v1
	v_cvt_u32_f32_e32 v1, v1
	v_ashrrev_i32_e32 v0, 31, v0
	v_mul_lo_u32 v2, s2, v1
	v_mul_hi_u32 v2, v1, v2
	v_add_u32_e32 v1, v1, v2
	v_mul_hi_u32 v1, v3, v1
	v_mul_lo_u32 v1, v1, s1
	v_sub_u32_e32 v1, v3, v1
	v_subrev_u32_e32 v2, s1, v1
	v_cmp_le_u32_e32 vcc, s1, v1
	v_cndmask_b32_e32 v1, v1, v2, vcc
	v_subrev_u32_e32 v2, s1, v1
	v_cmp_le_u32_e32 vcc, s1, v1
	v_cndmask_b32_e32 v1, v1, v2, vcc
	v_xor_b32_e32 v1, v1, v0
	v_sub_u32_e32 v0, v1, v0
	v_cmp_eq_u32_e32 vcc, 0, v0
	s_and_saveexec_b64 s[0:1], vcc
	s_cbranch_execz .LBB0_14
; %bb.1:
	s_load_dwordx4 s[0:3], s[4:5], 0x0
	v_mbcnt_lo_u32_b32 v0, exec_lo, 0
	v_mbcnt_hi_u32_b32 v0, exec_hi, v0
	v_lshlrev_b32_e32 v2, 2, v0
	v_mbcnt_lo_u32_b32 v0, -1, 0
	s_waitcnt lgkmcnt(0)
	global_load_dword v3, v2, s[0:1]
	s_mov_b64 s[0:1], -1
	s_cmp_lg_u64 exec, -1
	v_mbcnt_hi_u32_b32 v4, -1, v0
	s_cbranch_scc0 .LBB0_6
; %bb.2:
	v_add_co_u32_e64 v5, s[0:1], s8, 1
	s_andn2_b64 vcc, exec, s[0:1]
	s_cbranch_vccz .LBB0_7
; %bb.3:
	v_cmp_lt_i32_e32 vcc, -1, v5
	s_mov_b64 s[0:1], exec
	v_mov_b32_e32 v7, v4
	v_mov_b32_e32 v6, v5
	s_cbranch_vccnz .LBB0_5
; %bb.4:
	s_not_b32 s4, s8
	v_sub_u32_e32 v7, 63, v4
	s_brev_b64 s[0:1], exec
	v_mov_b32_e32 v6, s4
.LBB0_5:
	v_mov_b32_e32 v0, s0
	v_mov_b32_e32 v1, s1
	s_cbranch_execz .LBB0_8
	s_branch .LBB0_9
.LBB0_6:
                                        ; implicit-def: $vgpr0
	s_and_b64 vcc, exec, s[0:1]
	s_cbranch_vccnz .LBB0_12
	s_branch .LBB0_13
.LBB0_7:
                                        ; implicit-def: $vgpr7
                                        ; implicit-def: $vgpr6
                                        ; implicit-def: $sgpr0_sgpr1
	v_mov_b32_e32 v0, s0
	v_mov_b32_e32 v1, s1
.LBB0_8:
	v_lshlrev_b32_e64 v0, v4, 1
	v_ashrrev_i32_e32 v1, 31, v0
	v_and_b32_e32 v1, exec_hi, v1
	v_and_b32_e32 v0, exec_lo, v0
	v_mov_b32_e32 v6, 1
	v_mov_b32_e32 v7, v4
.LBB0_9:
	v_lshlrev_b64 v[7:8], v7, -1
	v_and_b32_e32 v0, v7, v0
	v_and_b32_e32 v1, v8, v1
	v_bcnt_u32_b32 v7, v0, 0
	v_bcnt_u32_b32 v7, v1, v7
	v_cmp_le_u32_e32 vcc, v6, v7
	v_mov_b32_e32 v7, -1
	s_and_saveexec_b64 s[0:1], vcc
	s_cbranch_execz .LBB0_11
; %bb.10:
	v_bcnt_u32_b32 v7, v0, 0
	v_cmp_gt_u32_e32 vcc, v6, v7
	v_cndmask_b32_e32 v0, v0, v1, vcc
	v_cndmask_b32_e32 v1, 0, v7, vcc
	v_and_b32_e32 v7, 0xffff, v0
	v_sub_u32_e32 v1, v6, v1
	v_bcnt_u32_b32 v8, v7, 0
	v_cndmask_b32_e64 v6, 0, 32, vcc
	v_lshrrev_b32_e32 v0, 16, v0
	v_cmp_gt_i32_e32 vcc, v1, v8
	v_cndmask_b32_e32 v0, v7, v0, vcc
	v_cndmask_b32_e32 v7, 0, v8, vcc
	v_sub_u32_e32 v1, v1, v7
	v_cndmask_b32_e64 v7, 0, 16, vcc
	v_or_b32_e32 v6, v7, v6
	v_and_b32_e32 v7, 0xff, v0
	v_bcnt_u32_b32 v8, v7, 0
	v_lshrrev_b32_e32 v0, 8, v0
	v_cmp_gt_i32_e32 vcc, v1, v8
	v_cndmask_b32_e32 v0, v7, v0, vcc
	v_cndmask_b32_e32 v7, 0, v8, vcc
	v_and_b32_e32 v8, 15, v0
	v_sub_u32_e32 v1, v1, v7
	v_bcnt_u32_b32 v9, v8, 0
	v_cndmask_b32_e64 v7, 0, 8, vcc
	v_lshrrev_b32_e32 v0, 4, v0
	v_cmp_gt_i32_e32 vcc, v1, v9
	v_cndmask_b32_e32 v0, v8, v0, vcc
	v_cndmask_b32_e32 v8, 0, v9, vcc
	v_sub_u32_e32 v1, v1, v8
	v_cndmask_b32_e64 v8, 0, 4, vcc
	v_or3_b32 v6, v6, v7, v8
	v_and_b32_e32 v7, 3, v0
	v_bcnt_u32_b32 v7, v7, 0
	v_lshrrev_b32_e32 v8, 2, v0
	v_cmp_gt_i32_e32 vcc, v1, v7
	v_cndmask_b32_e32 v7, 0, v7, vcc
	v_cndmask_b32_e32 v0, v0, v8, vcc
	v_sub_u32_e32 v1, v1, v7
	v_and_b32_e32 v0, 1, v0
	v_cndmask_b32_e64 v7, 0, 2, vcc
	v_cmp_gt_i32_e32 vcc, v1, v0
	v_cndmask_b32_e64 v0, 0, 1, vcc
	v_or3_b32 v0, v6, v7, v0
	v_xor_b32_e32 v1, 63, v0
	v_cmp_gt_i32_e32 vcc, 0, v5
	v_cndmask_b32_e32 v7, v0, v1, vcc
.LBB0_11:
	s_or_b64 exec, exec, s[0:1]
	v_cmp_eq_u32_e32 vcc, -1, v7
	v_cndmask_b32_e32 v0, v7, v4, vcc
	v_and_b32_e32 v1, 64, v4
	v_and_or_b32 v0, v0, 63, v1
	v_lshlrev_b32_e32 v0, 2, v0
	s_waitcnt vmcnt(0)
	ds_bpermute_b32 v0, v0, v3
	s_branch .LBB0_13
.LBB0_12:
	s_waitcnt lgkmcnt(0)
	v_and_b32_e32 v0, 63, v4
	v_add_u32_e32 v0, s8, v0
	v_mov_b32_e32 v1, s8
	v_cmp_gt_i32_e32 vcc, 64, v0
	v_cndmask_b32_e32 v0, 0, v1, vcc
	v_add_lshl_u32 v0, v0, v4, 2
	s_waitcnt vmcnt(0)
	ds_bpermute_b32 v0, v0, v3
.LBB0_13:
	s_waitcnt lgkmcnt(0)
	global_store_dword v2, v0, s[2:3]
.LBB0_14:
	s_endpgm
	.section	.rodata,"a",@progbits
	.p2align	6, 0x0
	.amdhsa_kernel _Z16kernel_shfl_downPiS_ii
		.amdhsa_group_segment_fixed_size 0
		.amdhsa_private_segment_fixed_size 0
		.amdhsa_kernarg_size 280
		.amdhsa_user_sgpr_count 6
		.amdhsa_user_sgpr_private_segment_buffer 1
		.amdhsa_user_sgpr_dispatch_ptr 0
		.amdhsa_user_sgpr_queue_ptr 0
		.amdhsa_user_sgpr_kernarg_segment_ptr 1
		.amdhsa_user_sgpr_dispatch_id 0
		.amdhsa_user_sgpr_flat_scratch_init 0
		.amdhsa_user_sgpr_private_segment_size 0
		.amdhsa_uses_dynamic_stack 0
		.amdhsa_system_sgpr_private_segment_wavefront_offset 0
		.amdhsa_system_sgpr_workgroup_id_x 1
		.amdhsa_system_sgpr_workgroup_id_y 0
		.amdhsa_system_sgpr_workgroup_id_z 0
		.amdhsa_system_sgpr_workgroup_info 0
		.amdhsa_system_vgpr_workitem_id 0
		.amdhsa_next_free_vgpr 10
		.amdhsa_next_free_sgpr 10
		.amdhsa_reserve_vcc 1
		.amdhsa_reserve_flat_scratch 0
		.amdhsa_float_round_mode_32 0
		.amdhsa_float_round_mode_16_64 0
		.amdhsa_float_denorm_mode_32 3
		.amdhsa_float_denorm_mode_16_64 3
		.amdhsa_dx10_clamp 1
		.amdhsa_ieee_mode 1
		.amdhsa_fp16_overflow 0
		.amdhsa_exception_fp_ieee_invalid_op 0
		.amdhsa_exception_fp_denorm_src 0
		.amdhsa_exception_fp_ieee_div_zero 0
		.amdhsa_exception_fp_ieee_overflow 0
		.amdhsa_exception_fp_ieee_underflow 0
		.amdhsa_exception_fp_ieee_inexact 0
		.amdhsa_exception_int_div_zero 0
	.end_amdhsa_kernel
	.text
.Lfunc_end0:
	.size	_Z16kernel_shfl_downPiS_ii, .Lfunc_end0-_Z16kernel_shfl_downPiS_ii
                                        ; -- End function
	.set _Z16kernel_shfl_downPiS_ii.num_vgpr, 10
	.set _Z16kernel_shfl_downPiS_ii.num_agpr, 0
	.set _Z16kernel_shfl_downPiS_ii.numbered_sgpr, 10
	.set _Z16kernel_shfl_downPiS_ii.num_named_barrier, 0
	.set _Z16kernel_shfl_downPiS_ii.private_seg_size, 0
	.set _Z16kernel_shfl_downPiS_ii.uses_vcc, 1
	.set _Z16kernel_shfl_downPiS_ii.uses_flat_scratch, 0
	.set _Z16kernel_shfl_downPiS_ii.has_dyn_sized_stack, 0
	.set _Z16kernel_shfl_downPiS_ii.has_recursion, 0
	.set _Z16kernel_shfl_downPiS_ii.has_indirect_call, 0
	.section	.AMDGPU.csdata,"",@progbits
; Kernel info:
; codeLenInByte = 744
; TotalNumSgprs: 14
; NumVgprs: 10
; ScratchSize: 0
; MemoryBound: 0
; FloatMode: 240
; IeeeMode: 1
; LDSByteSize: 0 bytes/workgroup (compile time only)
; SGPRBlocks: 1
; VGPRBlocks: 2
; NumSGPRsForWavesPerEU: 14
; NumVGPRsForWavesPerEU: 10
; Occupancy: 10
; WaveLimiterHint : 0
; COMPUTE_PGM_RSRC2:SCRATCH_EN: 0
; COMPUTE_PGM_RSRC2:USER_SGPR: 6
; COMPUTE_PGM_RSRC2:TRAP_HANDLER: 0
; COMPUTE_PGM_RSRC2:TGID_X_EN: 1
; COMPUTE_PGM_RSRC2:TGID_Y_EN: 0
; COMPUTE_PGM_RSRC2:TGID_Z_EN: 0
; COMPUTE_PGM_RSRC2:TIDIG_COMP_CNT: 0
	.text
	.protected	_Z35kernel_cg_group_partition_shfl_downPiji ; -- Begin function _Z35kernel_cg_group_partition_shfl_downPiji
	.globl	_Z35kernel_cg_group_partition_shfl_downPiji
	.p2align	8
	.type	_Z35kernel_cg_group_partition_shfl_downPiji,@function
_Z35kernel_cg_group_partition_shfl_downPiji: ; @_Z35kernel_cg_group_partition_shfl_downPiji
; %bb.0:
	s_load_dwordx2 s[8:9], s[4:5], 0x8
	s_load_dword s0, s[4:5], 0x1c
	s_add_u32 s2, s4, 16
	s_addc_u32 s3, s5, 0
	s_waitcnt lgkmcnt(0)
	s_abs_i32 s1, s9
	v_cvt_f32_u32_e32 v1, s1
	s_sub_i32 s7, 0, s1
	s_and_b32 s0, s0, 0xffff
	s_mul_i32 s6, s6, s0
	v_rcp_iflag_f32_e32 v1, v1
	v_add_u32_e32 v0, s6, v0
	v_sub_u32_e32 v3, 0, v0
	v_max_i32_e32 v3, v0, v3
	v_mul_f32_e32 v1, 0x4f7ffffe, v1
	v_cvt_u32_f32_e32 v1, v1
	v_ashrrev_i32_e32 v0, 31, v0
	v_mul_lo_u32 v2, s7, v1
	v_mul_hi_u32 v2, v1, v2
	v_add_u32_e32 v1, v1, v2
	v_mul_hi_u32 v1, v3, v1
	v_mul_lo_u32 v1, v1, s1
	v_sub_u32_e32 v1, v3, v1
	v_subrev_u32_e32 v2, s1, v1
	v_cmp_le_u32_e32 vcc, s1, v1
	v_cndmask_b32_e32 v1, v1, v2, vcc
	v_subrev_u32_e32 v2, s1, v1
	v_cmp_le_u32_e32 vcc, s1, v1
	v_cndmask_b32_e32 v1, v1, v2, vcc
	v_xor_b32_e32 v1, v1, v0
	v_sub_u32_e32 v0, v1, v0
	v_cmp_eq_u32_e32 vcc, 0, v0
	s_and_saveexec_b64 s[0:1], vcc
	s_cbranch_execz .LBB1_428
; %bb.1:
	s_mov_b64 s[6:7], exec
	v_mbcnt_lo_u32_b32 v0, s6, 0
	v_mbcnt_hi_u32_b32 v29, s7, v0
	v_cmp_eq_u32_e32 vcc, 0, v29
	s_and_saveexec_b64 s[10:11], vcc
	s_cbranch_execz .LBB1_190
; %bb.2:
	v_cvt_f32_u32_e32 v0, s8
	s_load_dwordx2 s[12:13], s[2:3], 0x50
	v_mbcnt_lo_u32_b32 v1, -1, 0
	s_sub_i32 s0, 0, s8
	v_rcp_iflag_f32_e32 v0, v0
	v_mbcnt_hi_u32_b32 v31, -1, v1
	v_mov_b32_e32 v5, 0
	v_readfirstlane_b32 s1, v31
	v_mul_f32_e32 v0, 0x4f7ffffe, v0
	v_cvt_u32_f32_e32 v0, v0
	s_bcnt1_i32_b64 s9, s[6:7]
	v_mov_b32_e32 v6, 0
	v_readfirstlane_b32 s20, v0
	s_mul_i32 s0, s0, s20
	s_mul_hi_u32 s21, s20, s0
	v_cmp_eq_u32_e64 s[0:1], s1, v31
	s_and_saveexec_b64 s[14:15], s[0:1]
	s_cbranch_execz .LBB1_8
; %bb.3:
	v_mov_b32_e32 v0, 0
	s_waitcnt lgkmcnt(0)
	global_load_dwordx2 v[3:4], v0, s[12:13] offset:24 glc
	s_waitcnt vmcnt(0)
	buffer_wbinvl1_vol
	global_load_dwordx2 v[1:2], v0, s[12:13] offset:40
	global_load_dwordx2 v[5:6], v0, s[12:13]
	s_waitcnt vmcnt(1)
	v_and_b32_e32 v1, v1, v3
	v_and_b32_e32 v2, v2, v4
	v_mul_lo_u32 v2, v2, 24
	v_mul_hi_u32 v7, v1, 24
	v_mul_lo_u32 v1, v1, 24
	v_add_u32_e32 v2, v7, v2
	s_waitcnt vmcnt(0)
	v_add_co_u32_e32 v1, vcc, v5, v1
	v_addc_co_u32_e32 v2, vcc, v6, v2, vcc
	global_load_dwordx2 v[1:2], v[1:2], off glc
	s_waitcnt vmcnt(0)
	global_atomic_cmpswap_x2 v[5:6], v0, v[1:4], s[12:13] offset:24 glc
	s_waitcnt vmcnt(0)
	buffer_wbinvl1_vol
	v_cmp_ne_u64_e32 vcc, v[5:6], v[3:4]
	s_and_saveexec_b64 s[16:17], vcc
	s_cbranch_execz .LBB1_7
; %bb.4:
	s_mov_b64 s[18:19], 0
.LBB1_5:                                ; =>This Inner Loop Header: Depth=1
	s_sleep 1
	global_load_dwordx2 v[1:2], v0, s[12:13] offset:40
	global_load_dwordx2 v[7:8], v0, s[12:13]
	v_mov_b32_e32 v3, v5
	v_mov_b32_e32 v4, v6
	s_waitcnt vmcnt(1)
	v_and_b32_e32 v1, v1, v3
	s_waitcnt vmcnt(0)
	v_mad_u64_u32 v[5:6], s[22:23], v1, 24, v[7:8]
	v_and_b32_e32 v2, v2, v4
	v_mov_b32_e32 v1, v6
	v_mad_u64_u32 v[1:2], s[22:23], v2, 24, v[1:2]
	v_mov_b32_e32 v6, v1
	global_load_dwordx2 v[1:2], v[5:6], off glc
	s_waitcnt vmcnt(0)
	global_atomic_cmpswap_x2 v[5:6], v0, v[1:4], s[12:13] offset:24 glc
	s_waitcnt vmcnt(0)
	buffer_wbinvl1_vol
	v_cmp_eq_u64_e32 vcc, v[5:6], v[3:4]
	s_or_b64 s[18:19], vcc, s[18:19]
	s_andn2_b64 exec, exec, s[18:19]
	s_cbranch_execnz .LBB1_5
; %bb.6:
	s_or_b64 exec, exec, s[18:19]
.LBB1_7:
	s_or_b64 exec, exec, s[16:17]
.LBB1_8:
	s_or_b64 exec, exec, s[14:15]
	v_mov_b32_e32 v4, 0
	s_waitcnt lgkmcnt(0)
	global_load_dwordx2 v[7:8], v4, s[12:13] offset:40
	global_load_dwordx4 v[0:3], v4, s[12:13]
	v_readfirstlane_b32 s15, v6
	v_readfirstlane_b32 s14, v5
	s_add_i32 s22, s20, s21
	s_mov_b64 s[16:17], exec
	s_waitcnt vmcnt(1)
	v_readfirstlane_b32 s18, v7
	v_readfirstlane_b32 s19, v8
	s_and_b64 s[18:19], s[18:19], s[14:15]
	s_mul_i32 s20, s19, 24
	s_mul_hi_u32 s21, s18, 24
	s_mul_i32 s23, s18, 24
	s_add_i32 s20, s21, s20
	v_mov_b32_e32 v5, s20
	s_waitcnt vmcnt(0)
	v_add_co_u32_e32 v7, vcc, s23, v0
	v_addc_co_u32_e32 v8, vcc, v1, v5, vcc
	s_and_saveexec_b64 s[20:21], s[0:1]
	s_cbranch_execz .LBB1_10
; %bb.9:
	v_mov_b32_e32 v9, s16
	v_mov_b32_e32 v10, s17
	;; [unrolled: 1-line block ×4, first 2 shown]
	global_store_dwordx4 v[7:8], v[9:12], off offset:8
.LBB1_10:
	s_or_b64 exec, exec, s[20:21]
	s_lshl_b64 s[16:17], s[18:19], 12
	v_mov_b32_e32 v5, s17
	v_add_co_u32_e32 v2, vcc, s16, v2
	v_addc_co_u32_e32 v11, vcc, v3, v5, vcc
	v_lshlrev_b32_e32 v30, 6, v31
	s_mov_b32 s16, 0
	v_mov_b32_e32 v3, 33
	v_mov_b32_e32 v5, v4
	;; [unrolled: 1-line block ×3, first 2 shown]
	v_readfirstlane_b32 s20, v2
	v_readfirstlane_b32 s21, v11
	v_add_co_u32_e32 v9, vcc, v2, v30
	s_mov_b32 s17, s16
	s_mov_b32 s18, s16
	;; [unrolled: 1-line block ×3, first 2 shown]
	s_nop 0
	global_store_dwordx4 v30, v[3:6], s[20:21]
	v_mov_b32_e32 v2, s16
	s_mul_hi_u32 s28, s9, s22
	v_addc_co_u32_e32 v10, vcc, 0, v11, vcc
	v_mov_b32_e32 v3, s17
	v_mov_b32_e32 v4, s18
	;; [unrolled: 1-line block ×3, first 2 shown]
	global_store_dwordx4 v30, v[2:5], s[20:21] offset:16
	global_store_dwordx4 v30, v[2:5], s[20:21] offset:32
	;; [unrolled: 1-line block ×3, first 2 shown]
	s_and_saveexec_b64 s[16:17], s[0:1]
	s_cbranch_execz .LBB1_18
; %bb.11:
	v_mov_b32_e32 v6, 0
	global_load_dwordx2 v[13:14], v6, s[12:13] offset:32 glc
	global_load_dwordx2 v[2:3], v6, s[12:13] offset:40
	v_mov_b32_e32 v11, s14
	v_mov_b32_e32 v12, s15
	s_waitcnt vmcnt(0)
	v_and_b32_e32 v2, s14, v2
	v_and_b32_e32 v3, s15, v3
	v_mul_lo_u32 v3, v3, 24
	v_mul_hi_u32 v4, v2, 24
	v_mul_lo_u32 v2, v2, 24
	v_add_u32_e32 v3, v4, v3
	v_add_co_u32_e32 v4, vcc, v0, v2
	v_addc_co_u32_e32 v5, vcc, v1, v3, vcc
	global_store_dwordx2 v[4:5], v[13:14], off
	s_waitcnt vmcnt(0)
	global_atomic_cmpswap_x2 v[2:3], v6, v[11:14], s[12:13] offset:32 glc
	s_waitcnt vmcnt(0)
	v_cmp_ne_u64_e32 vcc, v[2:3], v[13:14]
	s_and_saveexec_b64 s[18:19], vcc
	s_cbranch_execz .LBB1_14
; %bb.12:
	s_mov_b64 s[20:21], 0
.LBB1_13:                               ; =>This Inner Loop Header: Depth=1
	s_sleep 1
	global_store_dwordx2 v[4:5], v[2:3], off
	v_mov_b32_e32 v0, s14
	v_mov_b32_e32 v1, s15
	s_waitcnt vmcnt(0)
	global_atomic_cmpswap_x2 v[0:1], v6, v[0:3], s[12:13] offset:32 glc
	s_waitcnt vmcnt(0)
	v_cmp_eq_u64_e32 vcc, v[0:1], v[2:3]
	v_mov_b32_e32 v3, v1
	s_or_b64 s[20:21], vcc, s[20:21]
	v_mov_b32_e32 v2, v0
	s_andn2_b64 exec, exec, s[20:21]
	s_cbranch_execnz .LBB1_13
.LBB1_14:
	s_or_b64 exec, exec, s[18:19]
	v_mov_b32_e32 v3, 0
	global_load_dwordx2 v[0:1], v3, s[12:13] offset:16
	s_mov_b64 s[18:19], exec
	v_mbcnt_lo_u32_b32 v2, s18, 0
	v_mbcnt_hi_u32_b32 v2, s19, v2
	v_cmp_eq_u32_e32 vcc, 0, v2
	s_and_saveexec_b64 s[20:21], vcc
	s_cbranch_execz .LBB1_16
; %bb.15:
	s_bcnt1_i32_b64 s18, s[18:19]
	v_mov_b32_e32 v2, s18
	s_waitcnt vmcnt(0)
	global_atomic_add_x2 v[0:1], v[2:3], off offset:8
.LBB1_16:
	s_or_b64 exec, exec, s[20:21]
	s_waitcnt vmcnt(0)
	global_load_dwordx2 v[2:3], v[0:1], off offset:16
	s_waitcnt vmcnt(0)
	v_cmp_eq_u64_e32 vcc, 0, v[2:3]
	s_cbranch_vccnz .LBB1_18
; %bb.17:
	global_load_dword v0, v[0:1], off offset:24
	v_mov_b32_e32 v1, 0
	s_waitcnt vmcnt(0)
	v_readfirstlane_b32 s18, v0
	s_and_b32 m0, s18, 0xffffff
	global_store_dwordx2 v[2:3], v[0:1], off
	s_sendmsg sendmsg(MSG_INTERRUPT)
.LBB1_18:
	s_or_b64 exec, exec, s[16:17]
	s_branch .LBB1_22
.LBB1_19:                               ;   in Loop: Header=BB1_22 Depth=1
	s_or_b64 exec, exec, s[16:17]
	v_readfirstlane_b32 s16, v0
	s_cmp_eq_u32 s16, 0
	s_cbranch_scc1 .LBB1_21
; %bb.20:                               ;   in Loop: Header=BB1_22 Depth=1
	s_sleep 1
	s_cbranch_execnz .LBB1_22
	s_branch .LBB1_24
.LBB1_21:
	s_branch .LBB1_24
.LBB1_22:                               ; =>This Inner Loop Header: Depth=1
	v_mov_b32_e32 v0, 1
	s_and_saveexec_b64 s[16:17], s[0:1]
	s_cbranch_execz .LBB1_19
; %bb.23:                               ;   in Loop: Header=BB1_22 Depth=1
	global_load_dword v0, v[7:8], off offset:20 glc
	s_waitcnt vmcnt(0)
	buffer_wbinvl1_vol
	v_and_b32_e32 v0, 1, v0
	s_branch .LBB1_19
.LBB1_24:
	global_load_dwordx2 v[0:1], v[9:10], off
	s_and_saveexec_b64 s[16:17], s[0:1]
	s_cbranch_execz .LBB1_27
; %bb.25:
	v_mov_b32_e32 v8, 0
	global_load_dwordx2 v[2:3], v8, s[12:13] offset:40
	global_load_dwordx2 v[11:12], v8, s[12:13] offset:24 glc
	global_load_dwordx2 v[4:5], v8, s[12:13]
	s_waitcnt vmcnt(2)
	v_readfirstlane_b32 s18, v2
	v_readfirstlane_b32 s19, v3
	s_add_u32 s20, s18, 1
	s_addc_u32 s21, s19, 0
	s_add_u32 s0, s20, s14
	s_addc_u32 s1, s21, s15
	s_cmp_eq_u64 s[0:1], 0
	s_cselect_b32 s1, s21, s1
	s_cselect_b32 s0, s20, s0
	s_and_b64 s[14:15], s[0:1], s[18:19]
	s_mul_i32 s15, s15, 24
	s_mul_hi_u32 s18, s14, 24
	s_mul_i32 s14, s14, 24
	s_add_i32 s15, s18, s15
	v_mov_b32_e32 v2, s15
	s_waitcnt vmcnt(0)
	v_add_co_u32_e32 v6, vcc, s14, v4
	v_addc_co_u32_e32 v7, vcc, v5, v2, vcc
	v_mov_b32_e32 v9, s0
	global_store_dwordx2 v[6:7], v[11:12], off
	v_mov_b32_e32 v10, s1
	s_waitcnt vmcnt(0)
	global_atomic_cmpswap_x2 v[4:5], v8, v[9:12], s[12:13] offset:24 glc
	s_mov_b64 s[14:15], 0
	s_waitcnt vmcnt(0)
	v_cmp_ne_u64_e32 vcc, v[4:5], v[11:12]
	s_and_b64 exec, exec, vcc
	s_cbranch_execz .LBB1_27
.LBB1_26:                               ; =>This Inner Loop Header: Depth=1
	s_sleep 1
	global_store_dwordx2 v[6:7], v[4:5], off
	v_mov_b32_e32 v2, s0
	v_mov_b32_e32 v3, s1
	s_waitcnt vmcnt(0)
	global_atomic_cmpswap_x2 v[2:3], v8, v[2:5], s[12:13] offset:24 glc
	s_waitcnt vmcnt(0)
	v_cmp_eq_u64_e32 vcc, v[2:3], v[4:5]
	v_mov_b32_e32 v5, v3
	s_or_b64 s[14:15], vcc, s[14:15]
	v_mov_b32_e32 v4, v2
	s_andn2_b64 exec, exec, s[14:15]
	s_cbranch_execnz .LBB1_26
.LBB1_27:
	s_or_b64 exec, exec, s[16:17]
	s_getpc_b64 s[14:15]
	s_add_u32 s14, s14, .str@rel32@lo+4
	s_addc_u32 s15, s15, .str@rel32@hi+12
	s_cmp_lg_u64 s[14:15], 0
	s_cbranch_scc0 .LBB1_113
; %bb.28:
	s_waitcnt vmcnt(0)
	v_and_b32_e32 v32, 2, v0
	v_mov_b32_e32 v26, 0
	v_and_b32_e32 v2, -3, v0
	v_mov_b32_e32 v3, v1
	s_mov_b64 s[16:17], 48
	v_mov_b32_e32 v8, 2
	v_mov_b32_e32 v9, 1
	s_branch .LBB1_30
.LBB1_29:                               ;   in Loop: Header=BB1_30 Depth=1
	s_or_b64 exec, exec, s[22:23]
	s_sub_u32 s16, s16, s18
	s_subb_u32 s17, s17, s19
	s_add_u32 s14, s14, s18
	s_addc_u32 s15, s15, s19
	s_cmp_lg_u64 s[16:17], 0
	s_cbranch_scc0 .LBB1_112
.LBB1_30:                               ; =>This Loop Header: Depth=1
                                        ;     Child Loop BB1_33 Depth 2
                                        ;     Child Loop BB1_41 Depth 2
	;; [unrolled: 1-line block ×11, first 2 shown]
	v_cmp_lt_u64_e64 s[0:1], s[16:17], 56
	v_cmp_gt_u64_e64 s[20:21], s[16:17], 7
	s_and_b64 s[0:1], s[0:1], exec
	s_cselect_b32 s19, s17, 0
	s_cselect_b32 s18, s16, 56
	s_add_u32 s0, s14, 8
	s_addc_u32 s1, s15, 0
	s_and_b64 vcc, exec, s[20:21]
	s_cbranch_vccnz .LBB1_34
; %bb.31:                               ;   in Loop: Header=BB1_30 Depth=1
	s_cmp_eq_u64 s[16:17], 0
	s_cbranch_scc1 .LBB1_35
; %bb.32:                               ;   in Loop: Header=BB1_30 Depth=1
	v_mov_b32_e32 v4, 0
	s_lshl_b64 s[0:1], s[18:19], 3
	s_mov_b64 s[20:21], 0
	v_mov_b32_e32 v5, 0
	s_mov_b64 s[22:23], s[14:15]
.LBB1_33:                               ;   Parent Loop BB1_30 Depth=1
                                        ; =>  This Inner Loop Header: Depth=2
	global_load_ubyte v6, v26, s[22:23]
	s_waitcnt vmcnt(0)
	v_and_b32_e32 v25, 0xffff, v6
	v_lshlrev_b64 v[6:7], s20, v[25:26]
	s_add_u32 s20, s20, 8
	s_addc_u32 s21, s21, 0
	s_add_u32 s22, s22, 1
	s_addc_u32 s23, s23, 0
	v_or_b32_e32 v4, v6, v4
	s_cmp_lg_u32 s0, s20
	v_or_b32_e32 v5, v7, v5
	s_cbranch_scc1 .LBB1_33
	s_branch .LBB1_36
.LBB1_34:                               ;   in Loop: Header=BB1_30 Depth=1
	s_mov_b32 s24, 0
	s_branch .LBB1_37
.LBB1_35:                               ;   in Loop: Header=BB1_30 Depth=1
	v_mov_b32_e32 v4, 0
	v_mov_b32_e32 v5, 0
.LBB1_36:                               ;   in Loop: Header=BB1_30 Depth=1
	s_mov_b64 s[0:1], s[14:15]
	s_mov_b32 s24, 0
	s_cbranch_execnz .LBB1_38
.LBB1_37:                               ;   in Loop: Header=BB1_30 Depth=1
	global_load_dwordx2 v[4:5], v26, s[14:15]
	s_add_i32 s24, s18, -8
.LBB1_38:                               ;   in Loop: Header=BB1_30 Depth=1
	s_add_u32 s20, s0, 8
	s_addc_u32 s21, s1, 0
	s_cmp_gt_u32 s24, 7
	s_cbranch_scc1 .LBB1_42
; %bb.39:                               ;   in Loop: Header=BB1_30 Depth=1
	s_cmp_eq_u32 s24, 0
	s_cbranch_scc1 .LBB1_43
; %bb.40:                               ;   in Loop: Header=BB1_30 Depth=1
	v_mov_b32_e32 v10, 0
	s_mov_b64 s[20:21], 0
	v_mov_b32_e32 v11, 0
	s_mov_b64 s[22:23], 0
.LBB1_41:                               ;   Parent Loop BB1_30 Depth=1
                                        ; =>  This Inner Loop Header: Depth=2
	s_add_u32 s26, s0, s22
	s_addc_u32 s27, s1, s23
	global_load_ubyte v6, v26, s[26:27]
	s_add_u32 s22, s22, 1
	s_addc_u32 s23, s23, 0
	s_waitcnt vmcnt(0)
	v_and_b32_e32 v25, 0xffff, v6
	v_lshlrev_b64 v[6:7], s20, v[25:26]
	s_add_u32 s20, s20, 8
	s_addc_u32 s21, s21, 0
	v_or_b32_e32 v10, v6, v10
	s_cmp_lg_u32 s24, s22
	v_or_b32_e32 v11, v7, v11
	s_cbranch_scc1 .LBB1_41
	s_branch .LBB1_44
.LBB1_42:                               ;   in Loop: Header=BB1_30 Depth=1
                                        ; implicit-def: $vgpr10_vgpr11
	s_mov_b32 s25, 0
	s_branch .LBB1_45
.LBB1_43:                               ;   in Loop: Header=BB1_30 Depth=1
	v_mov_b32_e32 v10, 0
	v_mov_b32_e32 v11, 0
.LBB1_44:                               ;   in Loop: Header=BB1_30 Depth=1
	s_mov_b64 s[20:21], s[0:1]
	s_mov_b32 s25, 0
	s_cbranch_execnz .LBB1_46
.LBB1_45:                               ;   in Loop: Header=BB1_30 Depth=1
	global_load_dwordx2 v[10:11], v26, s[0:1]
	s_add_i32 s25, s24, -8
.LBB1_46:                               ;   in Loop: Header=BB1_30 Depth=1
	s_add_u32 s0, s20, 8
	s_addc_u32 s1, s21, 0
	s_cmp_gt_u32 s25, 7
	s_cbranch_scc1 .LBB1_50
; %bb.47:                               ;   in Loop: Header=BB1_30 Depth=1
	s_cmp_eq_u32 s25, 0
	s_cbranch_scc1 .LBB1_51
; %bb.48:                               ;   in Loop: Header=BB1_30 Depth=1
	v_mov_b32_e32 v12, 0
	s_mov_b64 s[0:1], 0
	v_mov_b32_e32 v13, 0
	s_mov_b64 s[22:23], 0
.LBB1_49:                               ;   Parent Loop BB1_30 Depth=1
                                        ; =>  This Inner Loop Header: Depth=2
	s_add_u32 s26, s20, s22
	s_addc_u32 s27, s21, s23
	global_load_ubyte v6, v26, s[26:27]
	s_add_u32 s22, s22, 1
	s_addc_u32 s23, s23, 0
	s_waitcnt vmcnt(0)
	v_and_b32_e32 v25, 0xffff, v6
	v_lshlrev_b64 v[6:7], s0, v[25:26]
	s_add_u32 s0, s0, 8
	s_addc_u32 s1, s1, 0
	v_or_b32_e32 v12, v6, v12
	s_cmp_lg_u32 s25, s22
	v_or_b32_e32 v13, v7, v13
	s_cbranch_scc1 .LBB1_49
	s_branch .LBB1_52
.LBB1_50:                               ;   in Loop: Header=BB1_30 Depth=1
	s_mov_b32 s24, 0
	s_branch .LBB1_53
.LBB1_51:                               ;   in Loop: Header=BB1_30 Depth=1
	v_mov_b32_e32 v12, 0
	v_mov_b32_e32 v13, 0
.LBB1_52:                               ;   in Loop: Header=BB1_30 Depth=1
	s_mov_b64 s[0:1], s[20:21]
	s_mov_b32 s24, 0
	s_cbranch_execnz .LBB1_54
.LBB1_53:                               ;   in Loop: Header=BB1_30 Depth=1
	global_load_dwordx2 v[12:13], v26, s[20:21]
	s_add_i32 s24, s25, -8
.LBB1_54:                               ;   in Loop: Header=BB1_30 Depth=1
	s_add_u32 s20, s0, 8
	s_addc_u32 s21, s1, 0
	s_cmp_gt_u32 s24, 7
	s_cbranch_scc1 .LBB1_58
; %bb.55:                               ;   in Loop: Header=BB1_30 Depth=1
	s_cmp_eq_u32 s24, 0
	s_cbranch_scc1 .LBB1_59
; %bb.56:                               ;   in Loop: Header=BB1_30 Depth=1
	v_mov_b32_e32 v14, 0
	s_mov_b64 s[20:21], 0
	v_mov_b32_e32 v15, 0
	s_mov_b64 s[22:23], 0
.LBB1_57:                               ;   Parent Loop BB1_30 Depth=1
                                        ; =>  This Inner Loop Header: Depth=2
	s_add_u32 s26, s0, s22
	s_addc_u32 s27, s1, s23
	global_load_ubyte v6, v26, s[26:27]
	s_add_u32 s22, s22, 1
	s_addc_u32 s23, s23, 0
	s_waitcnt vmcnt(0)
	v_and_b32_e32 v25, 0xffff, v6
	v_lshlrev_b64 v[6:7], s20, v[25:26]
	s_add_u32 s20, s20, 8
	s_addc_u32 s21, s21, 0
	v_or_b32_e32 v14, v6, v14
	s_cmp_lg_u32 s24, s22
	v_or_b32_e32 v15, v7, v15
	s_cbranch_scc1 .LBB1_57
	s_branch .LBB1_60
.LBB1_58:                               ;   in Loop: Header=BB1_30 Depth=1
                                        ; implicit-def: $vgpr14_vgpr15
	s_mov_b32 s25, 0
	s_branch .LBB1_61
.LBB1_59:                               ;   in Loop: Header=BB1_30 Depth=1
	v_mov_b32_e32 v14, 0
	v_mov_b32_e32 v15, 0
.LBB1_60:                               ;   in Loop: Header=BB1_30 Depth=1
	s_mov_b64 s[20:21], s[0:1]
	s_mov_b32 s25, 0
	s_cbranch_execnz .LBB1_62
.LBB1_61:                               ;   in Loop: Header=BB1_30 Depth=1
	global_load_dwordx2 v[14:15], v26, s[0:1]
	s_add_i32 s25, s24, -8
.LBB1_62:                               ;   in Loop: Header=BB1_30 Depth=1
	s_add_u32 s0, s20, 8
	s_addc_u32 s1, s21, 0
	s_cmp_gt_u32 s25, 7
	s_cbranch_scc1 .LBB1_66
; %bb.63:                               ;   in Loop: Header=BB1_30 Depth=1
	s_cmp_eq_u32 s25, 0
	s_cbranch_scc1 .LBB1_67
; %bb.64:                               ;   in Loop: Header=BB1_30 Depth=1
	v_mov_b32_e32 v16, 0
	s_mov_b64 s[0:1], 0
	v_mov_b32_e32 v17, 0
	s_mov_b64 s[22:23], 0
.LBB1_65:                               ;   Parent Loop BB1_30 Depth=1
                                        ; =>  This Inner Loop Header: Depth=2
	s_add_u32 s26, s20, s22
	s_addc_u32 s27, s21, s23
	global_load_ubyte v6, v26, s[26:27]
	s_add_u32 s22, s22, 1
	s_addc_u32 s23, s23, 0
	s_waitcnt vmcnt(0)
	v_and_b32_e32 v25, 0xffff, v6
	v_lshlrev_b64 v[6:7], s0, v[25:26]
	s_add_u32 s0, s0, 8
	s_addc_u32 s1, s1, 0
	v_or_b32_e32 v16, v6, v16
	s_cmp_lg_u32 s25, s22
	v_or_b32_e32 v17, v7, v17
	s_cbranch_scc1 .LBB1_65
	s_branch .LBB1_68
.LBB1_66:                               ;   in Loop: Header=BB1_30 Depth=1
	s_mov_b32 s24, 0
	s_branch .LBB1_69
.LBB1_67:                               ;   in Loop: Header=BB1_30 Depth=1
	v_mov_b32_e32 v16, 0
	v_mov_b32_e32 v17, 0
.LBB1_68:                               ;   in Loop: Header=BB1_30 Depth=1
	s_mov_b64 s[0:1], s[20:21]
	s_mov_b32 s24, 0
	s_cbranch_execnz .LBB1_70
.LBB1_69:                               ;   in Loop: Header=BB1_30 Depth=1
	global_load_dwordx2 v[16:17], v26, s[20:21]
	s_add_i32 s24, s25, -8
.LBB1_70:                               ;   in Loop: Header=BB1_30 Depth=1
	s_add_u32 s20, s0, 8
	s_addc_u32 s21, s1, 0
	s_cmp_gt_u32 s24, 7
	s_cbranch_scc1 .LBB1_74
; %bb.71:                               ;   in Loop: Header=BB1_30 Depth=1
	s_cmp_eq_u32 s24, 0
	s_cbranch_scc1 .LBB1_75
; %bb.72:                               ;   in Loop: Header=BB1_30 Depth=1
	v_mov_b32_e32 v18, 0
	s_mov_b64 s[20:21], 0
	v_mov_b32_e32 v19, 0
	s_mov_b64 s[22:23], 0
.LBB1_73:                               ;   Parent Loop BB1_30 Depth=1
                                        ; =>  This Inner Loop Header: Depth=2
	s_add_u32 s26, s0, s22
	s_addc_u32 s27, s1, s23
	global_load_ubyte v6, v26, s[26:27]
	s_add_u32 s22, s22, 1
	s_addc_u32 s23, s23, 0
	s_waitcnt vmcnt(0)
	v_and_b32_e32 v25, 0xffff, v6
	v_lshlrev_b64 v[6:7], s20, v[25:26]
	s_add_u32 s20, s20, 8
	s_addc_u32 s21, s21, 0
	v_or_b32_e32 v18, v6, v18
	s_cmp_lg_u32 s24, s22
	v_or_b32_e32 v19, v7, v19
	s_cbranch_scc1 .LBB1_73
	s_branch .LBB1_76
.LBB1_74:                               ;   in Loop: Header=BB1_30 Depth=1
                                        ; implicit-def: $vgpr18_vgpr19
	s_mov_b32 s25, 0
	s_branch .LBB1_77
.LBB1_75:                               ;   in Loop: Header=BB1_30 Depth=1
	v_mov_b32_e32 v18, 0
	v_mov_b32_e32 v19, 0
.LBB1_76:                               ;   in Loop: Header=BB1_30 Depth=1
	s_mov_b64 s[20:21], s[0:1]
	s_mov_b32 s25, 0
	s_cbranch_execnz .LBB1_78
.LBB1_77:                               ;   in Loop: Header=BB1_30 Depth=1
	global_load_dwordx2 v[18:19], v26, s[0:1]
	s_add_i32 s25, s24, -8
.LBB1_78:                               ;   in Loop: Header=BB1_30 Depth=1
	s_cmp_gt_u32 s25, 7
	s_cbranch_scc1 .LBB1_82
; %bb.79:                               ;   in Loop: Header=BB1_30 Depth=1
	s_cmp_eq_u32 s25, 0
	s_cbranch_scc1 .LBB1_83
; %bb.80:                               ;   in Loop: Header=BB1_30 Depth=1
	v_mov_b32_e32 v20, 0
	s_mov_b64 s[0:1], 0
	v_mov_b32_e32 v21, 0
	s_mov_b64 s[22:23], s[20:21]
.LBB1_81:                               ;   Parent Loop BB1_30 Depth=1
                                        ; =>  This Inner Loop Header: Depth=2
	global_load_ubyte v6, v26, s[22:23]
	s_add_i32 s25, s25, -1
	s_waitcnt vmcnt(0)
	v_and_b32_e32 v25, 0xffff, v6
	v_lshlrev_b64 v[6:7], s0, v[25:26]
	s_add_u32 s0, s0, 8
	s_addc_u32 s1, s1, 0
	s_add_u32 s22, s22, 1
	s_addc_u32 s23, s23, 0
	v_or_b32_e32 v20, v6, v20
	s_cmp_lg_u32 s25, 0
	v_or_b32_e32 v21, v7, v21
	s_cbranch_scc1 .LBB1_81
	s_branch .LBB1_84
.LBB1_82:                               ;   in Loop: Header=BB1_30 Depth=1
	s_branch .LBB1_85
.LBB1_83:                               ;   in Loop: Header=BB1_30 Depth=1
	v_mov_b32_e32 v20, 0
	v_mov_b32_e32 v21, 0
.LBB1_84:                               ;   in Loop: Header=BB1_30 Depth=1
	s_cbranch_execnz .LBB1_86
.LBB1_85:                               ;   in Loop: Header=BB1_30 Depth=1
	global_load_dwordx2 v[20:21], v26, s[20:21]
.LBB1_86:                               ;   in Loop: Header=BB1_30 Depth=1
	v_readfirstlane_b32 s0, v31
	v_mov_b32_e32 v6, 0
	v_mov_b32_e32 v7, 0
	v_cmp_eq_u32_e64 s[0:1], s0, v31
	s_and_saveexec_b64 s[20:21], s[0:1]
	s_cbranch_execz .LBB1_92
; %bb.87:                               ;   in Loop: Header=BB1_30 Depth=1
	global_load_dwordx2 v[24:25], v26, s[12:13] offset:24 glc
	s_waitcnt vmcnt(0)
	buffer_wbinvl1_vol
	global_load_dwordx2 v[6:7], v26, s[12:13] offset:40
	global_load_dwordx2 v[22:23], v26, s[12:13]
	s_waitcnt vmcnt(1)
	v_and_b32_e32 v6, v6, v24
	v_and_b32_e32 v7, v7, v25
	v_mul_lo_u32 v7, v7, 24
	v_mul_hi_u32 v27, v6, 24
	v_mul_lo_u32 v6, v6, 24
	v_add_u32_e32 v7, v27, v7
	s_waitcnt vmcnt(0)
	v_add_co_u32_e32 v6, vcc, v22, v6
	v_addc_co_u32_e32 v7, vcc, v23, v7, vcc
	global_load_dwordx2 v[22:23], v[6:7], off glc
	s_waitcnt vmcnt(0)
	global_atomic_cmpswap_x2 v[6:7], v26, v[22:25], s[12:13] offset:24 glc
	s_waitcnt vmcnt(0)
	buffer_wbinvl1_vol
	v_cmp_ne_u64_e32 vcc, v[6:7], v[24:25]
	s_and_saveexec_b64 s[22:23], vcc
	s_cbranch_execz .LBB1_91
; %bb.88:                               ;   in Loop: Header=BB1_30 Depth=1
	s_mov_b64 s[24:25], 0
.LBB1_89:                               ;   Parent Loop BB1_30 Depth=1
                                        ; =>  This Inner Loop Header: Depth=2
	s_sleep 1
	global_load_dwordx2 v[22:23], v26, s[12:13] offset:40
	global_load_dwordx2 v[27:28], v26, s[12:13]
	v_mov_b32_e32 v25, v7
	v_mov_b32_e32 v24, v6
	s_waitcnt vmcnt(1)
	v_and_b32_e32 v6, v22, v24
	s_waitcnt vmcnt(0)
	v_mad_u64_u32 v[6:7], s[26:27], v6, 24, v[27:28]
	v_and_b32_e32 v22, v23, v25
	v_mad_u64_u32 v[22:23], s[26:27], v22, 24, v[7:8]
	v_mov_b32_e32 v7, v22
	global_load_dwordx2 v[22:23], v[6:7], off glc
	s_waitcnt vmcnt(0)
	global_atomic_cmpswap_x2 v[6:7], v26, v[22:25], s[12:13] offset:24 glc
	s_waitcnt vmcnt(0)
	buffer_wbinvl1_vol
	v_cmp_eq_u64_e32 vcc, v[6:7], v[24:25]
	s_or_b64 s[24:25], vcc, s[24:25]
	s_andn2_b64 exec, exec, s[24:25]
	s_cbranch_execnz .LBB1_89
; %bb.90:                               ;   in Loop: Header=BB1_30 Depth=1
	s_or_b64 exec, exec, s[24:25]
.LBB1_91:                               ;   in Loop: Header=BB1_30 Depth=1
	s_or_b64 exec, exec, s[22:23]
.LBB1_92:                               ;   in Loop: Header=BB1_30 Depth=1
	s_or_b64 exec, exec, s[20:21]
	global_load_dwordx2 v[27:28], v26, s[12:13] offset:40
	global_load_dwordx4 v[22:25], v26, s[12:13]
	v_readfirstlane_b32 s21, v7
	v_readfirstlane_b32 s20, v6
	s_mov_b64 s[22:23], exec
	s_waitcnt vmcnt(1)
	v_readfirstlane_b32 s24, v27
	v_readfirstlane_b32 s25, v28
	s_and_b64 s[24:25], s[24:25], s[20:21]
	s_mul_i32 s26, s25, 24
	s_mul_hi_u32 s27, s24, 24
	s_mul_i32 s29, s24, 24
	s_add_i32 s26, s27, s26
	v_mov_b32_e32 v6, s26
	s_waitcnt vmcnt(0)
	v_add_co_u32_e32 v27, vcc, s29, v22
	v_addc_co_u32_e32 v28, vcc, v23, v6, vcc
	s_and_saveexec_b64 s[26:27], s[0:1]
	s_cbranch_execz .LBB1_94
; %bb.93:                               ;   in Loop: Header=BB1_30 Depth=1
	v_mov_b32_e32 v6, s22
	v_mov_b32_e32 v7, s23
	global_store_dwordx4 v[27:28], v[6:9], off offset:8
.LBB1_94:                               ;   in Loop: Header=BB1_30 Depth=1
	s_or_b64 exec, exec, s[26:27]
	s_lshl_b64 s[22:23], s[24:25], 12
	v_mov_b32_e32 v6, s23
	v_add_co_u32_e32 v24, vcc, s22, v24
	v_addc_co_u32_e32 v33, vcc, v25, v6, vcc
	v_cmp_lt_u64_e64 vcc, s[16:17], 57
	s_lshl_b32 s22, s18, 2
	v_cndmask_b32_e32 v6, 0, v32, vcc
	s_add_i32 s22, s22, 28
	v_and_b32_e32 v2, 0xffffff1f, v2
	s_and_b32 s22, s22, 0x1e0
	v_or_b32_e32 v2, v2, v6
	v_or_b32_e32 v2, s22, v2
	v_readfirstlane_b32 s22, v24
	v_readfirstlane_b32 s23, v33
	s_nop 4
	global_store_dwordx4 v30, v[2:5], s[22:23]
	global_store_dwordx4 v30, v[10:13], s[22:23] offset:16
	global_store_dwordx4 v30, v[14:17], s[22:23] offset:32
	;; [unrolled: 1-line block ×3, first 2 shown]
	s_and_saveexec_b64 s[22:23], s[0:1]
	s_cbranch_execz .LBB1_102
; %bb.95:                               ;   in Loop: Header=BB1_30 Depth=1
	global_load_dwordx2 v[12:13], v26, s[12:13] offset:32 glc
	global_load_dwordx2 v[2:3], v26, s[12:13] offset:40
	v_mov_b32_e32 v10, s20
	v_mov_b32_e32 v11, s21
	s_waitcnt vmcnt(0)
	v_readfirstlane_b32 s24, v2
	v_readfirstlane_b32 s25, v3
	s_and_b64 s[24:25], s[24:25], s[20:21]
	s_mul_i32 s25, s25, 24
	s_mul_hi_u32 s26, s24, 24
	s_mul_i32 s24, s24, 24
	s_add_i32 s25, s26, s25
	v_mov_b32_e32 v2, s25
	v_add_co_u32_e32 v6, vcc, s24, v22
	v_addc_co_u32_e32 v7, vcc, v23, v2, vcc
	global_store_dwordx2 v[6:7], v[12:13], off
	s_waitcnt vmcnt(0)
	global_atomic_cmpswap_x2 v[4:5], v26, v[10:13], s[12:13] offset:32 glc
	s_waitcnt vmcnt(0)
	v_cmp_ne_u64_e32 vcc, v[4:5], v[12:13]
	s_and_saveexec_b64 s[24:25], vcc
	s_cbranch_execz .LBB1_98
; %bb.96:                               ;   in Loop: Header=BB1_30 Depth=1
	s_mov_b64 s[26:27], 0
.LBB1_97:                               ;   Parent Loop BB1_30 Depth=1
                                        ; =>  This Inner Loop Header: Depth=2
	s_sleep 1
	global_store_dwordx2 v[6:7], v[4:5], off
	v_mov_b32_e32 v2, s20
	v_mov_b32_e32 v3, s21
	s_waitcnt vmcnt(0)
	global_atomic_cmpswap_x2 v[2:3], v26, v[2:5], s[12:13] offset:32 glc
	s_waitcnt vmcnt(0)
	v_cmp_eq_u64_e32 vcc, v[2:3], v[4:5]
	v_mov_b32_e32 v5, v3
	s_or_b64 s[26:27], vcc, s[26:27]
	v_mov_b32_e32 v4, v2
	s_andn2_b64 exec, exec, s[26:27]
	s_cbranch_execnz .LBB1_97
.LBB1_98:                               ;   in Loop: Header=BB1_30 Depth=1
	s_or_b64 exec, exec, s[24:25]
	global_load_dwordx2 v[2:3], v26, s[12:13] offset:16
	s_mov_b64 s[26:27], exec
	v_mbcnt_lo_u32_b32 v4, s26, 0
	v_mbcnt_hi_u32_b32 v4, s27, v4
	v_cmp_eq_u32_e32 vcc, 0, v4
	s_and_saveexec_b64 s[24:25], vcc
	s_cbranch_execz .LBB1_100
; %bb.99:                               ;   in Loop: Header=BB1_30 Depth=1
	s_bcnt1_i32_b64 s26, s[26:27]
	v_mov_b32_e32 v25, s26
	s_waitcnt vmcnt(0)
	global_atomic_add_x2 v[2:3], v[25:26], off offset:8
.LBB1_100:                              ;   in Loop: Header=BB1_30 Depth=1
	s_or_b64 exec, exec, s[24:25]
	s_waitcnt vmcnt(0)
	global_load_dwordx2 v[4:5], v[2:3], off offset:16
	s_waitcnt vmcnt(0)
	v_cmp_eq_u64_e32 vcc, 0, v[4:5]
	s_cbranch_vccnz .LBB1_102
; %bb.101:                              ;   in Loop: Header=BB1_30 Depth=1
	global_load_dword v25, v[2:3], off offset:24
	s_waitcnt vmcnt(0)
	v_readfirstlane_b32 s24, v25
	s_and_b32 m0, s24, 0xffffff
	global_store_dwordx2 v[4:5], v[25:26], off
	s_sendmsg sendmsg(MSG_INTERRUPT)
.LBB1_102:                              ;   in Loop: Header=BB1_30 Depth=1
	s_or_b64 exec, exec, s[22:23]
	v_add_co_u32_e32 v2, vcc, v24, v30
	v_addc_co_u32_e32 v3, vcc, 0, v33, vcc
	s_branch .LBB1_106
.LBB1_103:                              ;   in Loop: Header=BB1_106 Depth=2
	s_or_b64 exec, exec, s[22:23]
	v_readfirstlane_b32 s22, v4
	s_cmp_eq_u32 s22, 0
	s_cbranch_scc1 .LBB1_105
; %bb.104:                              ;   in Loop: Header=BB1_106 Depth=2
	s_sleep 1
	s_cbranch_execnz .LBB1_106
	s_branch .LBB1_108
.LBB1_105:                              ;   in Loop: Header=BB1_30 Depth=1
	s_branch .LBB1_108
.LBB1_106:                              ;   Parent Loop BB1_30 Depth=1
                                        ; =>  This Inner Loop Header: Depth=2
	v_mov_b32_e32 v4, 1
	s_and_saveexec_b64 s[22:23], s[0:1]
	s_cbranch_execz .LBB1_103
; %bb.107:                              ;   in Loop: Header=BB1_106 Depth=2
	global_load_dword v4, v[27:28], off offset:20 glc
	s_waitcnt vmcnt(0)
	buffer_wbinvl1_vol
	v_and_b32_e32 v4, 1, v4
	s_branch .LBB1_103
.LBB1_108:                              ;   in Loop: Header=BB1_30 Depth=1
	global_load_dwordx2 v[2:3], v[2:3], off
	s_and_saveexec_b64 s[22:23], s[0:1]
	s_cbranch_execz .LBB1_29
; %bb.109:                              ;   in Loop: Header=BB1_30 Depth=1
	global_load_dwordx2 v[4:5], v26, s[12:13] offset:40
	global_load_dwordx2 v[14:15], v26, s[12:13] offset:24 glc
	global_load_dwordx2 v[6:7], v26, s[12:13]
	s_waitcnt vmcnt(2)
	v_readfirstlane_b32 s24, v4
	v_readfirstlane_b32 s25, v5
	s_add_u32 s26, s24, 1
	s_addc_u32 s27, s25, 0
	s_add_u32 s0, s26, s20
	s_addc_u32 s1, s27, s21
	s_cmp_eq_u64 s[0:1], 0
	s_cselect_b32 s1, s27, s1
	s_cselect_b32 s0, s26, s0
	s_and_b64 s[20:21], s[0:1], s[24:25]
	s_mul_i32 s21, s21, 24
	s_mul_hi_u32 s24, s20, 24
	s_mul_i32 s20, s20, 24
	s_add_i32 s21, s24, s21
	v_mov_b32_e32 v4, s21
	s_waitcnt vmcnt(0)
	v_add_co_u32_e32 v10, vcc, s20, v6
	v_addc_co_u32_e32 v11, vcc, v7, v4, vcc
	v_mov_b32_e32 v12, s0
	global_store_dwordx2 v[10:11], v[14:15], off
	v_mov_b32_e32 v13, s1
	s_waitcnt vmcnt(0)
	global_atomic_cmpswap_x2 v[6:7], v26, v[12:15], s[12:13] offset:24 glc
	s_waitcnt vmcnt(0)
	v_cmp_ne_u64_e32 vcc, v[6:7], v[14:15]
	s_and_b64 exec, exec, vcc
	s_cbranch_execz .LBB1_29
; %bb.110:                              ;   in Loop: Header=BB1_30 Depth=1
	s_mov_b64 s[20:21], 0
.LBB1_111:                              ;   Parent Loop BB1_30 Depth=1
                                        ; =>  This Inner Loop Header: Depth=2
	s_sleep 1
	global_store_dwordx2 v[10:11], v[6:7], off
	v_mov_b32_e32 v4, s0
	v_mov_b32_e32 v5, s1
	s_waitcnt vmcnt(0)
	global_atomic_cmpswap_x2 v[4:5], v26, v[4:7], s[12:13] offset:24 glc
	s_waitcnt vmcnt(0)
	v_cmp_eq_u64_e32 vcc, v[4:5], v[6:7]
	v_mov_b32_e32 v7, v5
	s_or_b64 s[20:21], vcc, s[20:21]
	v_mov_b32_e32 v6, v4
	s_andn2_b64 exec, exec, s[20:21]
	s_cbranch_execnz .LBB1_111
	s_branch .LBB1_29
.LBB1_112:
	s_branch .LBB1_140
.LBB1_113:
                                        ; implicit-def: $vgpr2_vgpr3
	s_cbranch_execz .LBB1_140
; %bb.114:
	v_readfirstlane_b32 s0, v31
	v_mov_b32_e32 v8, 0
	v_mov_b32_e32 v9, 0
	v_cmp_eq_u32_e64 s[0:1], s0, v31
	s_and_saveexec_b64 s[14:15], s[0:1]
	s_cbranch_execz .LBB1_120
; %bb.115:
	s_waitcnt vmcnt(0)
	v_mov_b32_e32 v2, 0
	global_load_dwordx2 v[5:6], v2, s[12:13] offset:24 glc
	s_waitcnt vmcnt(0)
	buffer_wbinvl1_vol
	global_load_dwordx2 v[3:4], v2, s[12:13] offset:40
	global_load_dwordx2 v[7:8], v2, s[12:13]
	s_waitcnt vmcnt(1)
	v_and_b32_e32 v3, v3, v5
	v_and_b32_e32 v4, v4, v6
	v_mul_lo_u32 v4, v4, 24
	v_mul_hi_u32 v9, v3, 24
	v_mul_lo_u32 v3, v3, 24
	v_add_u32_e32 v4, v9, v4
	s_waitcnt vmcnt(0)
	v_add_co_u32_e32 v3, vcc, v7, v3
	v_addc_co_u32_e32 v4, vcc, v8, v4, vcc
	global_load_dwordx2 v[3:4], v[3:4], off glc
	s_waitcnt vmcnt(0)
	global_atomic_cmpswap_x2 v[8:9], v2, v[3:6], s[12:13] offset:24 glc
	s_waitcnt vmcnt(0)
	buffer_wbinvl1_vol
	v_cmp_ne_u64_e32 vcc, v[8:9], v[5:6]
	s_and_saveexec_b64 s[16:17], vcc
	s_cbranch_execz .LBB1_119
; %bb.116:
	s_mov_b64 s[18:19], 0
.LBB1_117:                              ; =>This Inner Loop Header: Depth=1
	s_sleep 1
	global_load_dwordx2 v[3:4], v2, s[12:13] offset:40
	global_load_dwordx2 v[10:11], v2, s[12:13]
	v_mov_b32_e32 v5, v8
	v_mov_b32_e32 v6, v9
	s_waitcnt vmcnt(1)
	v_and_b32_e32 v3, v3, v5
	s_waitcnt vmcnt(0)
	v_mad_u64_u32 v[7:8], s[20:21], v3, 24, v[10:11]
	v_and_b32_e32 v4, v4, v6
	v_mov_b32_e32 v3, v8
	v_mad_u64_u32 v[3:4], s[20:21], v4, 24, v[3:4]
	v_mov_b32_e32 v8, v3
	global_load_dwordx2 v[3:4], v[7:8], off glc
	s_waitcnt vmcnt(0)
	global_atomic_cmpswap_x2 v[8:9], v2, v[3:6], s[12:13] offset:24 glc
	s_waitcnt vmcnt(0)
	buffer_wbinvl1_vol
	v_cmp_eq_u64_e32 vcc, v[8:9], v[5:6]
	s_or_b64 s[18:19], vcc, s[18:19]
	s_andn2_b64 exec, exec, s[18:19]
	s_cbranch_execnz .LBB1_117
; %bb.118:
	s_or_b64 exec, exec, s[18:19]
.LBB1_119:
	s_or_b64 exec, exec, s[16:17]
.LBB1_120:
	s_or_b64 exec, exec, s[14:15]
	s_waitcnt vmcnt(0)
	v_mov_b32_e32 v2, 0
	global_load_dwordx2 v[10:11], v2, s[12:13] offset:40
	global_load_dwordx4 v[4:7], v2, s[12:13]
	v_readfirstlane_b32 s15, v9
	v_readfirstlane_b32 s14, v8
	s_mov_b64 s[16:17], exec
	s_waitcnt vmcnt(1)
	v_readfirstlane_b32 s18, v10
	v_readfirstlane_b32 s19, v11
	s_and_b64 s[18:19], s[18:19], s[14:15]
	s_mul_i32 s20, s19, 24
	s_mul_hi_u32 s21, s18, 24
	s_mul_i32 s22, s18, 24
	s_add_i32 s20, s21, s20
	v_mov_b32_e32 v3, s20
	s_waitcnt vmcnt(0)
	v_add_co_u32_e32 v8, vcc, s22, v4
	v_addc_co_u32_e32 v9, vcc, v5, v3, vcc
	s_and_saveexec_b64 s[20:21], s[0:1]
	s_cbranch_execz .LBB1_122
; %bb.121:
	v_mov_b32_e32 v10, s16
	v_mov_b32_e32 v11, s17
	;; [unrolled: 1-line block ×4, first 2 shown]
	global_store_dwordx4 v[8:9], v[10:13], off offset:8
.LBB1_122:
	s_or_b64 exec, exec, s[20:21]
	s_lshl_b64 s[16:17], s[18:19], 12
	v_mov_b32_e32 v3, s17
	v_add_co_u32_e32 v10, vcc, s16, v6
	v_addc_co_u32_e32 v11, vcc, v7, v3, vcc
	s_movk_i32 s16, 0xff1f
	v_and_or_b32 v0, v0, s16, 32
	s_mov_b32 s16, 0
	v_mov_b32_e32 v3, v2
	v_readfirstlane_b32 s20, v10
	v_readfirstlane_b32 s21, v11
	v_add_co_u32_e32 v6, vcc, v10, v30
	s_mov_b32 s17, s16
	s_mov_b32 s18, s16
	;; [unrolled: 1-line block ×3, first 2 shown]
	s_nop 0
	global_store_dwordx4 v30, v[0:3], s[20:21]
	v_addc_co_u32_e32 v7, vcc, 0, v11, vcc
	v_mov_b32_e32 v0, s16
	v_mov_b32_e32 v1, s17
	;; [unrolled: 1-line block ×4, first 2 shown]
	global_store_dwordx4 v30, v[0:3], s[20:21] offset:16
	global_store_dwordx4 v30, v[0:3], s[20:21] offset:32
	;; [unrolled: 1-line block ×3, first 2 shown]
	s_and_saveexec_b64 s[16:17], s[0:1]
	s_cbranch_execz .LBB1_130
; %bb.123:
	v_mov_b32_e32 v10, 0
	global_load_dwordx2 v[13:14], v10, s[12:13] offset:32 glc
	global_load_dwordx2 v[0:1], v10, s[12:13] offset:40
	v_mov_b32_e32 v11, s14
	v_mov_b32_e32 v12, s15
	s_waitcnt vmcnt(0)
	v_readfirstlane_b32 s18, v0
	v_readfirstlane_b32 s19, v1
	s_and_b64 s[18:19], s[18:19], s[14:15]
	s_mul_i32 s19, s19, 24
	s_mul_hi_u32 s20, s18, 24
	s_mul_i32 s18, s18, 24
	s_add_i32 s19, s20, s19
	v_mov_b32_e32 v0, s19
	v_add_co_u32_e32 v4, vcc, s18, v4
	v_addc_co_u32_e32 v5, vcc, v5, v0, vcc
	global_store_dwordx2 v[4:5], v[13:14], off
	s_waitcnt vmcnt(0)
	global_atomic_cmpswap_x2 v[2:3], v10, v[11:14], s[12:13] offset:32 glc
	s_waitcnt vmcnt(0)
	v_cmp_ne_u64_e32 vcc, v[2:3], v[13:14]
	s_and_saveexec_b64 s[18:19], vcc
	s_cbranch_execz .LBB1_126
; %bb.124:
	s_mov_b64 s[20:21], 0
.LBB1_125:                              ; =>This Inner Loop Header: Depth=1
	s_sleep 1
	global_store_dwordx2 v[4:5], v[2:3], off
	v_mov_b32_e32 v0, s14
	v_mov_b32_e32 v1, s15
	s_waitcnt vmcnt(0)
	global_atomic_cmpswap_x2 v[0:1], v10, v[0:3], s[12:13] offset:32 glc
	s_waitcnt vmcnt(0)
	v_cmp_eq_u64_e32 vcc, v[0:1], v[2:3]
	v_mov_b32_e32 v3, v1
	s_or_b64 s[20:21], vcc, s[20:21]
	v_mov_b32_e32 v2, v0
	s_andn2_b64 exec, exec, s[20:21]
	s_cbranch_execnz .LBB1_125
.LBB1_126:
	s_or_b64 exec, exec, s[18:19]
	v_mov_b32_e32 v3, 0
	global_load_dwordx2 v[0:1], v3, s[12:13] offset:16
	s_mov_b64 s[18:19], exec
	v_mbcnt_lo_u32_b32 v2, s18, 0
	v_mbcnt_hi_u32_b32 v2, s19, v2
	v_cmp_eq_u32_e32 vcc, 0, v2
	s_and_saveexec_b64 s[20:21], vcc
	s_cbranch_execz .LBB1_128
; %bb.127:
	s_bcnt1_i32_b64 s18, s[18:19]
	v_mov_b32_e32 v2, s18
	s_waitcnt vmcnt(0)
	global_atomic_add_x2 v[0:1], v[2:3], off offset:8
.LBB1_128:
	s_or_b64 exec, exec, s[20:21]
	s_waitcnt vmcnt(0)
	global_load_dwordx2 v[2:3], v[0:1], off offset:16
	s_waitcnt vmcnt(0)
	v_cmp_eq_u64_e32 vcc, 0, v[2:3]
	s_cbranch_vccnz .LBB1_130
; %bb.129:
	global_load_dword v0, v[0:1], off offset:24
	v_mov_b32_e32 v1, 0
	s_waitcnt vmcnt(0)
	v_readfirstlane_b32 s18, v0
	s_and_b32 m0, s18, 0xffffff
	global_store_dwordx2 v[2:3], v[0:1], off
	s_sendmsg sendmsg(MSG_INTERRUPT)
.LBB1_130:
	s_or_b64 exec, exec, s[16:17]
	s_branch .LBB1_134
.LBB1_131:                              ;   in Loop: Header=BB1_134 Depth=1
	s_or_b64 exec, exec, s[16:17]
	v_readfirstlane_b32 s16, v0
	s_cmp_eq_u32 s16, 0
	s_cbranch_scc1 .LBB1_133
; %bb.132:                              ;   in Loop: Header=BB1_134 Depth=1
	s_sleep 1
	s_cbranch_execnz .LBB1_134
	s_branch .LBB1_136
.LBB1_133:
	s_branch .LBB1_136
.LBB1_134:                              ; =>This Inner Loop Header: Depth=1
	v_mov_b32_e32 v0, 1
	s_and_saveexec_b64 s[16:17], s[0:1]
	s_cbranch_execz .LBB1_131
; %bb.135:                              ;   in Loop: Header=BB1_134 Depth=1
	global_load_dword v0, v[8:9], off offset:20 glc
	s_waitcnt vmcnt(0)
	buffer_wbinvl1_vol
	v_and_b32_e32 v0, 1, v0
	s_branch .LBB1_131
.LBB1_136:
	global_load_dwordx2 v[2:3], v[6:7], off
	s_and_saveexec_b64 s[16:17], s[0:1]
	s_cbranch_execz .LBB1_139
; %bb.137:
	v_mov_b32_e32 v8, 0
	global_load_dwordx2 v[0:1], v8, s[12:13] offset:40
	global_load_dwordx2 v[11:12], v8, s[12:13] offset:24 glc
	global_load_dwordx2 v[4:5], v8, s[12:13]
	s_waitcnt vmcnt(2)
	v_readfirstlane_b32 s18, v0
	v_readfirstlane_b32 s19, v1
	s_add_u32 s20, s18, 1
	s_addc_u32 s21, s19, 0
	s_add_u32 s0, s20, s14
	s_addc_u32 s1, s21, s15
	s_cmp_eq_u64 s[0:1], 0
	s_cselect_b32 s1, s21, s1
	s_cselect_b32 s0, s20, s0
	s_and_b64 s[14:15], s[0:1], s[18:19]
	s_mul_i32 s15, s15, 24
	s_mul_hi_u32 s18, s14, 24
	s_mul_i32 s14, s14, 24
	s_add_i32 s15, s18, s15
	v_mov_b32_e32 v1, s15
	s_waitcnt vmcnt(0)
	v_add_co_u32_e32 v0, vcc, s14, v4
	v_addc_co_u32_e32 v1, vcc, v5, v1, vcc
	v_mov_b32_e32 v9, s0
	global_store_dwordx2 v[0:1], v[11:12], off
	v_mov_b32_e32 v10, s1
	s_waitcnt vmcnt(0)
	global_atomic_cmpswap_x2 v[6:7], v8, v[9:12], s[12:13] offset:24 glc
	s_mov_b64 s[14:15], 0
	s_waitcnt vmcnt(0)
	v_cmp_ne_u64_e32 vcc, v[6:7], v[11:12]
	s_and_b64 exec, exec, vcc
	s_cbranch_execz .LBB1_139
.LBB1_138:                              ; =>This Inner Loop Header: Depth=1
	s_sleep 1
	global_store_dwordx2 v[0:1], v[6:7], off
	v_mov_b32_e32 v4, s0
	v_mov_b32_e32 v5, s1
	s_waitcnt vmcnt(0)
	global_atomic_cmpswap_x2 v[4:5], v8, v[4:7], s[12:13] offset:24 glc
	s_waitcnt vmcnt(0)
	v_cmp_eq_u64_e32 vcc, v[4:5], v[6:7]
	v_mov_b32_e32 v7, v5
	s_or_b64 s[14:15], vcc, s[14:15]
	v_mov_b32_e32 v6, v4
	s_andn2_b64 exec, exec, s[14:15]
	s_cbranch_execnz .LBB1_138
.LBB1_139:
	s_or_b64 exec, exec, s[16:17]
.LBB1_140:
	v_readfirstlane_b32 s0, v31
	s_waitcnt vmcnt(0)
	v_mov_b32_e32 v0, 0
	v_mov_b32_e32 v1, 0
	v_cmp_eq_u32_e64 s[0:1], s0, v31
	s_and_saveexec_b64 s[14:15], s[0:1]
	s_cbranch_execz .LBB1_146
; %bb.141:
	v_mov_b32_e32 v4, 0
	global_load_dwordx2 v[7:8], v4, s[12:13] offset:24 glc
	s_waitcnt vmcnt(0)
	buffer_wbinvl1_vol
	global_load_dwordx2 v[0:1], v4, s[12:13] offset:40
	global_load_dwordx2 v[5:6], v4, s[12:13]
	s_waitcnt vmcnt(1)
	v_and_b32_e32 v0, v0, v7
	v_and_b32_e32 v1, v1, v8
	v_mul_lo_u32 v1, v1, 24
	v_mul_hi_u32 v9, v0, 24
	v_mul_lo_u32 v0, v0, 24
	v_add_u32_e32 v1, v9, v1
	s_waitcnt vmcnt(0)
	v_add_co_u32_e32 v0, vcc, v5, v0
	v_addc_co_u32_e32 v1, vcc, v6, v1, vcc
	global_load_dwordx2 v[5:6], v[0:1], off glc
	s_waitcnt vmcnt(0)
	global_atomic_cmpswap_x2 v[0:1], v4, v[5:8], s[12:13] offset:24 glc
	s_waitcnt vmcnt(0)
	buffer_wbinvl1_vol
	v_cmp_ne_u64_e32 vcc, v[0:1], v[7:8]
	s_and_saveexec_b64 s[16:17], vcc
	s_cbranch_execz .LBB1_145
; %bb.142:
	s_mov_b64 s[18:19], 0
.LBB1_143:                              ; =>This Inner Loop Header: Depth=1
	s_sleep 1
	global_load_dwordx2 v[5:6], v4, s[12:13] offset:40
	global_load_dwordx2 v[9:10], v4, s[12:13]
	v_mov_b32_e32 v8, v1
	v_mov_b32_e32 v7, v0
	s_waitcnt vmcnt(1)
	v_and_b32_e32 v0, v5, v7
	s_waitcnt vmcnt(0)
	v_mad_u64_u32 v[0:1], s[20:21], v0, 24, v[9:10]
	v_and_b32_e32 v5, v6, v8
	v_mad_u64_u32 v[5:6], s[20:21], v5, 24, v[1:2]
	v_mov_b32_e32 v1, v5
	global_load_dwordx2 v[5:6], v[0:1], off glc
	s_waitcnt vmcnt(0)
	global_atomic_cmpswap_x2 v[0:1], v4, v[5:8], s[12:13] offset:24 glc
	s_waitcnt vmcnt(0)
	buffer_wbinvl1_vol
	v_cmp_eq_u64_e32 vcc, v[0:1], v[7:8]
	s_or_b64 s[18:19], vcc, s[18:19]
	s_andn2_b64 exec, exec, s[18:19]
	s_cbranch_execnz .LBB1_143
; %bb.144:
	s_or_b64 exec, exec, s[18:19]
.LBB1_145:
	s_or_b64 exec, exec, s[16:17]
.LBB1_146:
	s_or_b64 exec, exec, s[14:15]
	v_mov_b32_e32 v5, 0
	global_load_dwordx2 v[10:11], v5, s[12:13] offset:40
	global_load_dwordx4 v[6:9], v5, s[12:13]
	v_readfirstlane_b32 s15, v1
	v_readfirstlane_b32 s14, v0
	s_mov_b64 s[16:17], exec
	s_waitcnt vmcnt(1)
	v_readfirstlane_b32 s18, v10
	v_readfirstlane_b32 s19, v11
	s_and_b64 s[18:19], s[18:19], s[14:15]
	s_mul_i32 s20, s19, 24
	s_mul_hi_u32 s21, s18, 24
	s_mul_i32 s22, s18, 24
	s_add_i32 s20, s21, s20
	v_mov_b32_e32 v0, s20
	s_waitcnt vmcnt(0)
	v_add_co_u32_e32 v10, vcc, s22, v6
	v_addc_co_u32_e32 v11, vcc, v7, v0, vcc
	s_and_saveexec_b64 s[20:21], s[0:1]
	s_cbranch_execz .LBB1_148
; %bb.147:
	v_mov_b32_e32 v12, s16
	v_mov_b32_e32 v13, s17
	;; [unrolled: 1-line block ×4, first 2 shown]
	global_store_dwordx4 v[10:11], v[12:15], off offset:8
.LBB1_148:
	s_or_b64 exec, exec, s[20:21]
	s_lshl_b64 s[16:17], s[18:19], 12
	v_add_co_u32_e32 v1, vcc, s16, v8
	s_mul_i32 s16, s28, s8
	s_sub_i32 s9, s9, s16
	v_mov_b32_e32 v0, s17
	s_add_i32 s16, s28, 1
	s_sub_i32 s17, s9, s8
	s_cmp_ge_u32 s9, s8
	s_cselect_b32 s16, s16, s28
	s_cselect_b32 s9, s17, s9
	s_add_i32 s17, s16, 1
	s_cmp_ge_u32 s9, s8
	v_addc_co_u32_e32 v0, vcc, v9, v0, vcc
	s_cselect_b32 s9, s17, s16
	s_movk_i32 s17, 0xff1f
	s_mov_b32 s16, 0
	v_and_or_b32 v2, v2, s17, 32
	v_add_co_u32_e32 v8, vcc, v1, v30
	v_mov_b32_e32 v4, s9
	v_readfirstlane_b32 s20, v1
	v_readfirstlane_b32 s21, v0
	v_addc_co_u32_e32 v9, vcc, 0, v0, vcc
	s_mov_b32 s17, s16
	s_mov_b32 s18, s16
	;; [unrolled: 1-line block ×3, first 2 shown]
	s_nop 0
	global_store_dwordx4 v30, v[2:5], s[20:21]
	v_mov_b32_e32 v0, s16
	v_mov_b32_e32 v1, s17
	;; [unrolled: 1-line block ×4, first 2 shown]
	global_store_dwordx4 v30, v[0:3], s[20:21] offset:16
	global_store_dwordx4 v30, v[0:3], s[20:21] offset:32
	;; [unrolled: 1-line block ×3, first 2 shown]
	s_and_saveexec_b64 s[16:17], s[0:1]
	s_cbranch_execz .LBB1_156
; %bb.149:
	v_mov_b32_e32 v12, 0
	global_load_dwordx2 v[15:16], v12, s[12:13] offset:32 glc
	global_load_dwordx2 v[0:1], v12, s[12:13] offset:40
	v_mov_b32_e32 v13, s14
	v_mov_b32_e32 v14, s15
	s_waitcnt vmcnt(0)
	v_readfirstlane_b32 s18, v0
	v_readfirstlane_b32 s19, v1
	s_and_b64 s[18:19], s[18:19], s[14:15]
	s_mul_i32 s9, s19, 24
	s_mul_hi_u32 s19, s18, 24
	s_mul_i32 s18, s18, 24
	s_add_i32 s9, s19, s9
	v_mov_b32_e32 v0, s9
	v_add_co_u32_e32 v4, vcc, s18, v6
	v_addc_co_u32_e32 v5, vcc, v7, v0, vcc
	global_store_dwordx2 v[4:5], v[15:16], off
	s_waitcnt vmcnt(0)
	global_atomic_cmpswap_x2 v[2:3], v12, v[13:16], s[12:13] offset:32 glc
	s_waitcnt vmcnt(0)
	v_cmp_ne_u64_e32 vcc, v[2:3], v[15:16]
	s_and_saveexec_b64 s[18:19], vcc
	s_cbranch_execz .LBB1_152
; %bb.150:
	s_mov_b64 s[20:21], 0
.LBB1_151:                              ; =>This Inner Loop Header: Depth=1
	s_sleep 1
	global_store_dwordx2 v[4:5], v[2:3], off
	v_mov_b32_e32 v0, s14
	v_mov_b32_e32 v1, s15
	s_waitcnt vmcnt(0)
	global_atomic_cmpswap_x2 v[0:1], v12, v[0:3], s[12:13] offset:32 glc
	s_waitcnt vmcnt(0)
	v_cmp_eq_u64_e32 vcc, v[0:1], v[2:3]
	v_mov_b32_e32 v3, v1
	s_or_b64 s[20:21], vcc, s[20:21]
	v_mov_b32_e32 v2, v0
	s_andn2_b64 exec, exec, s[20:21]
	s_cbranch_execnz .LBB1_151
.LBB1_152:
	s_or_b64 exec, exec, s[18:19]
	v_mov_b32_e32 v3, 0
	global_load_dwordx2 v[0:1], v3, s[12:13] offset:16
	s_mov_b64 s[18:19], exec
	v_mbcnt_lo_u32_b32 v2, s18, 0
	v_mbcnt_hi_u32_b32 v2, s19, v2
	v_cmp_eq_u32_e32 vcc, 0, v2
	s_and_saveexec_b64 s[20:21], vcc
	s_cbranch_execz .LBB1_154
; %bb.153:
	s_bcnt1_i32_b64 s9, s[18:19]
	v_mov_b32_e32 v2, s9
	s_waitcnt vmcnt(0)
	global_atomic_add_x2 v[0:1], v[2:3], off offset:8
.LBB1_154:
	s_or_b64 exec, exec, s[20:21]
	s_waitcnt vmcnt(0)
	global_load_dwordx2 v[2:3], v[0:1], off offset:16
	s_waitcnt vmcnt(0)
	v_cmp_eq_u64_e32 vcc, 0, v[2:3]
	s_cbranch_vccnz .LBB1_156
; %bb.155:
	global_load_dword v0, v[0:1], off offset:24
	v_mov_b32_e32 v1, 0
	s_waitcnt vmcnt(0)
	v_readfirstlane_b32 s9, v0
	s_and_b32 m0, s9, 0xffffff
	global_store_dwordx2 v[2:3], v[0:1], off
	s_sendmsg sendmsg(MSG_INTERRUPT)
.LBB1_156:
	s_or_b64 exec, exec, s[16:17]
	s_branch .LBB1_160
.LBB1_157:                              ;   in Loop: Header=BB1_160 Depth=1
	s_or_b64 exec, exec, s[16:17]
	v_readfirstlane_b32 s9, v0
	s_cmp_eq_u32 s9, 0
	s_cbranch_scc1 .LBB1_159
; %bb.158:                              ;   in Loop: Header=BB1_160 Depth=1
	s_sleep 1
	s_cbranch_execnz .LBB1_160
	s_branch .LBB1_162
.LBB1_159:
	s_branch .LBB1_162
.LBB1_160:                              ; =>This Inner Loop Header: Depth=1
	v_mov_b32_e32 v0, 1
	s_and_saveexec_b64 s[16:17], s[0:1]
	s_cbranch_execz .LBB1_157
; %bb.161:                              ;   in Loop: Header=BB1_160 Depth=1
	global_load_dword v0, v[10:11], off offset:20 glc
	s_waitcnt vmcnt(0)
	buffer_wbinvl1_vol
	v_and_b32_e32 v0, 1, v0
	s_branch .LBB1_157
.LBB1_162:
	global_load_dwordx2 v[0:1], v[8:9], off
	s_and_saveexec_b64 s[16:17], s[0:1]
	s_cbranch_execz .LBB1_165
; %bb.163:
	v_mov_b32_e32 v8, 0
	global_load_dwordx2 v[2:3], v8, s[12:13] offset:40
	global_load_dwordx2 v[11:12], v8, s[12:13] offset:24 glc
	global_load_dwordx2 v[4:5], v8, s[12:13]
	s_waitcnt vmcnt(2)
	v_readfirstlane_b32 s18, v2
	v_readfirstlane_b32 s19, v3
	s_add_u32 s9, s18, 1
	s_addc_u32 s20, s19, 0
	s_add_u32 s0, s9, s14
	s_addc_u32 s1, s20, s15
	s_cmp_eq_u64 s[0:1], 0
	s_cselect_b32 s1, s20, s1
	s_cselect_b32 s0, s9, s0
	s_and_b64 s[14:15], s[0:1], s[18:19]
	s_mul_i32 s9, s15, 24
	s_mul_hi_u32 s15, s14, 24
	s_mul_i32 s14, s14, 24
	s_add_i32 s9, s15, s9
	v_mov_b32_e32 v2, s9
	s_waitcnt vmcnt(0)
	v_add_co_u32_e32 v6, vcc, s14, v4
	v_addc_co_u32_e32 v7, vcc, v5, v2, vcc
	v_mov_b32_e32 v9, s0
	global_store_dwordx2 v[6:7], v[11:12], off
	v_mov_b32_e32 v10, s1
	s_waitcnt vmcnt(0)
	global_atomic_cmpswap_x2 v[4:5], v8, v[9:12], s[12:13] offset:24 glc
	s_mov_b64 s[14:15], 0
	s_waitcnt vmcnt(0)
	v_cmp_ne_u64_e32 vcc, v[4:5], v[11:12]
	s_and_b64 exec, exec, vcc
	s_cbranch_execz .LBB1_165
.LBB1_164:                              ; =>This Inner Loop Header: Depth=1
	s_sleep 1
	global_store_dwordx2 v[6:7], v[4:5], off
	v_mov_b32_e32 v2, s0
	v_mov_b32_e32 v3, s1
	s_waitcnt vmcnt(0)
	global_atomic_cmpswap_x2 v[2:3], v8, v[2:5], s[12:13] offset:24 glc
	s_waitcnt vmcnt(0)
	v_cmp_eq_u64_e32 vcc, v[2:3], v[4:5]
	v_mov_b32_e32 v5, v3
	s_or_b64 s[14:15], vcc, s[14:15]
	v_mov_b32_e32 v4, v2
	s_andn2_b64 exec, exec, s[14:15]
	s_cbranch_execnz .LBB1_164
.LBB1_165:
	s_or_b64 exec, exec, s[16:17]
	v_readfirstlane_b32 s0, v31
	v_mov_b32_e32 v8, 0
	v_mov_b32_e32 v9, 0
	v_cmp_eq_u32_e64 s[0:1], s0, v31
	s_and_saveexec_b64 s[14:15], s[0:1]
	s_cbranch_execz .LBB1_171
; %bb.166:
	v_mov_b32_e32 v2, 0
	global_load_dwordx2 v[5:6], v2, s[12:13] offset:24 glc
	s_waitcnt vmcnt(0)
	buffer_wbinvl1_vol
	global_load_dwordx2 v[3:4], v2, s[12:13] offset:40
	global_load_dwordx2 v[7:8], v2, s[12:13]
	s_waitcnt vmcnt(1)
	v_and_b32_e32 v3, v3, v5
	v_and_b32_e32 v4, v4, v6
	v_mul_lo_u32 v4, v4, 24
	v_mul_hi_u32 v9, v3, 24
	v_mul_lo_u32 v3, v3, 24
	v_add_u32_e32 v4, v9, v4
	s_waitcnt vmcnt(0)
	v_add_co_u32_e32 v3, vcc, v7, v3
	v_addc_co_u32_e32 v4, vcc, v8, v4, vcc
	global_load_dwordx2 v[3:4], v[3:4], off glc
	s_waitcnt vmcnt(0)
	global_atomic_cmpswap_x2 v[8:9], v2, v[3:6], s[12:13] offset:24 glc
	s_waitcnt vmcnt(0)
	buffer_wbinvl1_vol
	v_cmp_ne_u64_e32 vcc, v[8:9], v[5:6]
	s_and_saveexec_b64 s[16:17], vcc
	s_cbranch_execz .LBB1_170
; %bb.167:
	s_mov_b64 s[18:19], 0
.LBB1_168:                              ; =>This Inner Loop Header: Depth=1
	s_sleep 1
	global_load_dwordx2 v[3:4], v2, s[12:13] offset:40
	global_load_dwordx2 v[10:11], v2, s[12:13]
	v_mov_b32_e32 v5, v8
	v_mov_b32_e32 v6, v9
	s_waitcnt vmcnt(1)
	v_and_b32_e32 v3, v3, v5
	s_waitcnt vmcnt(0)
	v_mad_u64_u32 v[7:8], s[20:21], v3, 24, v[10:11]
	v_and_b32_e32 v4, v4, v6
	v_mov_b32_e32 v3, v8
	v_mad_u64_u32 v[3:4], s[20:21], v4, 24, v[3:4]
	v_mov_b32_e32 v8, v3
	global_load_dwordx2 v[3:4], v[7:8], off glc
	s_waitcnt vmcnt(0)
	global_atomic_cmpswap_x2 v[8:9], v2, v[3:6], s[12:13] offset:24 glc
	s_waitcnt vmcnt(0)
	buffer_wbinvl1_vol
	v_cmp_eq_u64_e32 vcc, v[8:9], v[5:6]
	s_or_b64 s[18:19], vcc, s[18:19]
	s_andn2_b64 exec, exec, s[18:19]
	s_cbranch_execnz .LBB1_168
; %bb.169:
	s_or_b64 exec, exec, s[18:19]
.LBB1_170:
	s_or_b64 exec, exec, s[16:17]
.LBB1_171:
	s_or_b64 exec, exec, s[14:15]
	v_mov_b32_e32 v3, 0
	global_load_dwordx2 v[10:11], v3, s[12:13] offset:40
	global_load_dwordx4 v[4:7], v3, s[12:13]
	v_readfirstlane_b32 s15, v9
	v_readfirstlane_b32 s14, v8
	s_mov_b64 s[16:17], exec
	s_waitcnt vmcnt(1)
	v_readfirstlane_b32 s18, v10
	v_readfirstlane_b32 s19, v11
	s_and_b64 s[18:19], s[18:19], s[14:15]
	s_mul_i32 s9, s19, 24
	s_mul_hi_u32 s20, s18, 24
	s_mul_i32 s21, s18, 24
	s_add_i32 s9, s20, s9
	v_mov_b32_e32 v2, s9
	s_waitcnt vmcnt(0)
	v_add_co_u32_e32 v8, vcc, s21, v4
	v_addc_co_u32_e32 v9, vcc, v5, v2, vcc
	s_and_saveexec_b64 s[20:21], s[0:1]
	s_cbranch_execz .LBB1_173
; %bb.172:
	v_mov_b32_e32 v10, s16
	v_mov_b32_e32 v11, s17
	;; [unrolled: 1-line block ×4, first 2 shown]
	global_store_dwordx4 v[8:9], v[10:13], off offset:8
.LBB1_173:
	s_or_b64 exec, exec, s[20:21]
	s_lshl_b64 s[16:17], s[18:19], 12
	v_mov_b32_e32 v2, s17
	v_add_co_u32_e32 v6, vcc, s16, v6
	v_addc_co_u32_e32 v7, vcc, v7, v2, vcc
	s_movk_i32 s9, 0xff1d
	s_mov_b32 s16, 0
	v_and_or_b32 v0, v0, s9, 34
	v_mov_b32_e32 v2, s8
	v_readfirstlane_b32 s20, v6
	v_readfirstlane_b32 s21, v7
	s_mov_b32 s17, s16
	s_mov_b32 s18, s16
	;; [unrolled: 1-line block ×3, first 2 shown]
	s_nop 1
	global_store_dwordx4 v30, v[0:3], s[20:21]
	s_nop 0
	v_mov_b32_e32 v0, s16
	v_mov_b32_e32 v1, s17
	;; [unrolled: 1-line block ×4, first 2 shown]
	global_store_dwordx4 v30, v[0:3], s[20:21] offset:16
	global_store_dwordx4 v30, v[0:3], s[20:21] offset:32
	;; [unrolled: 1-line block ×3, first 2 shown]
	s_and_saveexec_b64 s[16:17], s[0:1]
	s_cbranch_execz .LBB1_181
; %bb.174:
	v_mov_b32_e32 v6, 0
	global_load_dwordx2 v[12:13], v6, s[12:13] offset:32 glc
	global_load_dwordx2 v[0:1], v6, s[12:13] offset:40
	v_mov_b32_e32 v10, s14
	v_mov_b32_e32 v11, s15
	s_waitcnt vmcnt(0)
	v_readfirstlane_b32 s18, v0
	v_readfirstlane_b32 s19, v1
	s_and_b64 s[18:19], s[18:19], s[14:15]
	s_mul_i32 s9, s19, 24
	s_mul_hi_u32 s19, s18, 24
	s_mul_i32 s18, s18, 24
	s_add_i32 s9, s19, s9
	v_mov_b32_e32 v0, s9
	v_add_co_u32_e32 v4, vcc, s18, v4
	v_addc_co_u32_e32 v5, vcc, v5, v0, vcc
	global_store_dwordx2 v[4:5], v[12:13], off
	s_waitcnt vmcnt(0)
	global_atomic_cmpswap_x2 v[2:3], v6, v[10:13], s[12:13] offset:32 glc
	s_waitcnt vmcnt(0)
	v_cmp_ne_u64_e32 vcc, v[2:3], v[12:13]
	s_and_saveexec_b64 s[18:19], vcc
	s_cbranch_execz .LBB1_177
; %bb.175:
	s_mov_b64 s[20:21], 0
.LBB1_176:                              ; =>This Inner Loop Header: Depth=1
	s_sleep 1
	global_store_dwordx2 v[4:5], v[2:3], off
	v_mov_b32_e32 v0, s14
	v_mov_b32_e32 v1, s15
	s_waitcnt vmcnt(0)
	global_atomic_cmpswap_x2 v[0:1], v6, v[0:3], s[12:13] offset:32 glc
	s_waitcnt vmcnt(0)
	v_cmp_eq_u64_e32 vcc, v[0:1], v[2:3]
	v_mov_b32_e32 v3, v1
	s_or_b64 s[20:21], vcc, s[20:21]
	v_mov_b32_e32 v2, v0
	s_andn2_b64 exec, exec, s[20:21]
	s_cbranch_execnz .LBB1_176
.LBB1_177:
	s_or_b64 exec, exec, s[18:19]
	v_mov_b32_e32 v3, 0
	global_load_dwordx2 v[0:1], v3, s[12:13] offset:16
	s_mov_b64 s[18:19], exec
	v_mbcnt_lo_u32_b32 v2, s18, 0
	v_mbcnt_hi_u32_b32 v2, s19, v2
	v_cmp_eq_u32_e32 vcc, 0, v2
	s_and_saveexec_b64 s[20:21], vcc
	s_cbranch_execz .LBB1_179
; %bb.178:
	s_bcnt1_i32_b64 s9, s[18:19]
	v_mov_b32_e32 v2, s9
	s_waitcnt vmcnt(0)
	global_atomic_add_x2 v[0:1], v[2:3], off offset:8
.LBB1_179:
	s_or_b64 exec, exec, s[20:21]
	s_waitcnt vmcnt(0)
	global_load_dwordx2 v[2:3], v[0:1], off offset:16
	s_waitcnt vmcnt(0)
	v_cmp_eq_u64_e32 vcc, 0, v[2:3]
	s_cbranch_vccnz .LBB1_181
; %bb.180:
	global_load_dword v0, v[0:1], off offset:24
	v_mov_b32_e32 v1, 0
	s_waitcnt vmcnt(0)
	v_readfirstlane_b32 s9, v0
	s_and_b32 m0, s9, 0xffffff
	global_store_dwordx2 v[2:3], v[0:1], off
	s_sendmsg sendmsg(MSG_INTERRUPT)
.LBB1_181:
	s_or_b64 exec, exec, s[16:17]
	s_branch .LBB1_185
.LBB1_182:                              ;   in Loop: Header=BB1_185 Depth=1
	s_or_b64 exec, exec, s[16:17]
	v_readfirstlane_b32 s9, v0
	s_cmp_eq_u32 s9, 0
	s_cbranch_scc1 .LBB1_184
; %bb.183:                              ;   in Loop: Header=BB1_185 Depth=1
	s_sleep 1
	s_cbranch_execnz .LBB1_185
	s_branch .LBB1_187
.LBB1_184:
	s_branch .LBB1_187
.LBB1_185:                              ; =>This Inner Loop Header: Depth=1
	v_mov_b32_e32 v0, 1
	s_and_saveexec_b64 s[16:17], s[0:1]
	s_cbranch_execz .LBB1_182
; %bb.186:                              ;   in Loop: Header=BB1_185 Depth=1
	global_load_dword v0, v[8:9], off offset:20 glc
	s_waitcnt vmcnt(0)
	buffer_wbinvl1_vol
	v_and_b32_e32 v0, 1, v0
	s_branch .LBB1_182
.LBB1_187:
	s_and_b64 exec, exec, s[0:1]
	s_cbranch_execz .LBB1_190
; %bb.188:
	v_mov_b32_e32 v6, 0
	global_load_dwordx2 v[0:1], v6, s[12:13] offset:40
	global_load_dwordx2 v[9:10], v6, s[12:13] offset:24 glc
	global_load_dwordx2 v[2:3], v6, s[12:13]
	s_waitcnt vmcnt(2)
	v_readfirstlane_b32 s16, v0
	v_readfirstlane_b32 s17, v1
	s_add_u32 s9, s16, 1
	s_addc_u32 s18, s17, 0
	s_add_u32 s0, s9, s14
	s_addc_u32 s1, s18, s15
	s_cmp_eq_u64 s[0:1], 0
	s_cselect_b32 s1, s18, s1
	s_cselect_b32 s0, s9, s0
	s_and_b64 s[14:15], s[0:1], s[16:17]
	s_mul_i32 s9, s15, 24
	s_mul_hi_u32 s15, s14, 24
	s_mul_i32 s14, s14, 24
	s_add_i32 s9, s15, s9
	v_mov_b32_e32 v0, s9
	s_waitcnt vmcnt(0)
	v_add_co_u32_e32 v4, vcc, s14, v2
	v_addc_co_u32_e32 v5, vcc, v3, v0, vcc
	v_mov_b32_e32 v7, s0
	global_store_dwordx2 v[4:5], v[9:10], off
	v_mov_b32_e32 v8, s1
	s_waitcnt vmcnt(0)
	global_atomic_cmpswap_x2 v[2:3], v6, v[7:10], s[12:13] offset:24 glc
	s_mov_b64 s[14:15], 0
	s_waitcnt vmcnt(0)
	v_cmp_ne_u64_e32 vcc, v[2:3], v[9:10]
	s_and_b64 exec, exec, vcc
	s_cbranch_execz .LBB1_190
.LBB1_189:                              ; =>This Inner Loop Header: Depth=1
	s_sleep 1
	global_store_dwordx2 v[4:5], v[2:3], off
	v_mov_b32_e32 v0, s0
	v_mov_b32_e32 v1, s1
	s_waitcnt vmcnt(0)
	global_atomic_cmpswap_x2 v[0:1], v6, v[0:3], s[12:13] offset:24 glc
	s_waitcnt vmcnt(0)
	v_cmp_eq_u64_e32 vcc, v[0:1], v[2:3]
	v_mov_b32_e32 v3, v1
	s_or_b64 s[14:15], vcc, s[14:15]
	v_mov_b32_e32 v2, v0
	s_andn2_b64 exec, exec, s[14:15]
	s_cbranch_execnz .LBB1_189
.LBB1_190:
	s_or_b64 exec, exec, s[10:11]
	s_bcnt1_i32_b32 s0, s8
	s_cmp_lg_u32 s0, 1
	s_waitcnt vmcnt(0) lgkmcnt(0)
	buffer_wbinvl1_vol
	s_cbranch_scc1 .LBB1_201
; %bb.191:
	s_ff1_i32_b32 s0, s8
	v_lshrrev_b32_e32 v0, s0, v29
	v_mul_lo_u32 v2, v0, s8
	v_mov_b32_e32 v0, 0
	v_mov_b32_e32 v3, 0
	;; [unrolled: 1-line block ×3, first 2 shown]
	s_mov_b64 s[10:11], 0
	s_branch .LBB1_193
.LBB1_192:                              ;   in Loop: Header=BB1_193 Depth=1
	s_add_u32 s10, s10, 4
	s_addc_u32 s11, s11, 0
	s_cmp_eq_u32 s10, 64
	s_cbranch_scc1 .LBB1_202
.LBB1_193:                              ; =>This Inner Loop Header: Depth=1
	s_lshl_b64 s[0:1], 1, s10
	s_and_b64 s[12:13], s[0:1], s[6:7]
	s_cmp_eq_u64 s[12:13], 0
	s_cbranch_scc1 .LBB1_195
; %bb.194:                              ;   in Loop: Header=BB1_193 Depth=1
	v_cmp_gt_i32_e32 vcc, 1, v2
	v_cmp_gt_u32_e64 s[0:1], s8, v3
	v_mov_b32_e32 v4, s13
	s_and_b64 vcc, vcc, s[0:1]
	v_mov_b32_e32 v5, s12
	v_cndmask_b32_e32 v4, 0, v4, vcc
	v_cndmask_b32_e32 v5, 0, v5, vcc
	v_or_b32_e32 v1, v4, v1
	v_or_b32_e32 v0, v5, v0
	v_addc_co_u32_e32 v3, vcc, 0, v3, vcc
	v_add_u32_e32 v2, -1, v2
.LBB1_195:                              ;   in Loop: Header=BB1_193 Depth=1
	s_add_i32 s0, s10, 1
	s_lshl_b64 s[0:1], 1, s0
	s_and_b64 s[12:13], s[0:1], s[6:7]
	s_cmp_eq_u64 s[12:13], 0
	s_cbranch_scc1 .LBB1_197
; %bb.196:                              ;   in Loop: Header=BB1_193 Depth=1
	v_cmp_gt_i32_e32 vcc, 1, v2
	v_cmp_gt_u32_e64 s[0:1], s8, v3
	v_mov_b32_e32 v4, s13
	s_and_b64 vcc, vcc, s[0:1]
	v_mov_b32_e32 v5, s12
	v_cndmask_b32_e32 v4, 0, v4, vcc
	v_cndmask_b32_e32 v5, 0, v5, vcc
	v_or_b32_e32 v1, v4, v1
	v_or_b32_e32 v0, v5, v0
	v_addc_co_u32_e32 v3, vcc, 0, v3, vcc
	v_add_u32_e32 v2, -1, v2
.LBB1_197:                              ;   in Loop: Header=BB1_193 Depth=1
	s_add_i32 s0, s10, 2
	;; [unrolled: 18-line block ×3, first 2 shown]
	s_lshl_b64 s[0:1], 1, s0
	s_and_b64 s[12:13], s[0:1], s[6:7]
	s_cmp_eq_u64 s[12:13], 0
	s_cbranch_scc1 .LBB1_192
; %bb.200:                              ;   in Loop: Header=BB1_193 Depth=1
	v_cmp_gt_i32_e32 vcc, 1, v2
	v_cmp_gt_u32_e64 s[0:1], s8, v3
	v_mov_b32_e32 v4, s13
	s_and_b64 vcc, vcc, s[0:1]
	v_mov_b32_e32 v5, s12
	v_cndmask_b32_e32 v4, 0, v4, vcc
	v_cndmask_b32_e32 v5, 0, v5, vcc
	v_or_b32_e32 v1, v4, v1
	v_or_b32_e32 v0, v5, v0
	v_addc_co_u32_e32 v3, vcc, 0, v3, vcc
	v_add_u32_e32 v2, -1, v2
	s_branch .LBB1_192
.LBB1_201:
	v_mov_b32_e32 v0, 0
	v_mov_b32_e32 v1, 0
	v_mov_b32_e32 v33, 0
	s_branch .LBB1_203
.LBB1_202:
	v_bcnt_u32_b32 v2, v0, 0
	v_bcnt_u32_b32 v33, v1, v2
.LBB1_203:
	v_mbcnt_lo_u32_b32 v2, v0, 0
	v_mbcnt_hi_u32_b32 v2, v1, v2
	v_cmp_lt_u32_e32 vcc, 1, v33
	v_mov_b32_e32 v32, v2
	s_and_saveexec_b64 s[6:7], vcc
	s_cbranch_execz .LBB1_213
; %bb.204:
	v_mbcnt_lo_u32_b32 v3, -1, 0
	v_mbcnt_hi_u32_b32 v3, -1, v3
	v_lshlrev_b64 v[4:5], v3, -1
	v_and_b32_e32 v7, 63, v3
	v_and_b32_e32 v0, v4, v0
	;; [unrolled: 1-line block ×3, first 2 shown]
	v_bcnt_u32_b32 v4, v0, 0
	v_cmp_ne_u32_e64 s[0:1], 64, v33
	v_bcnt_u32_b32 v5, v1, v4
	v_and_b32_e32 v6, 64, v3
	v_sub_u32_e32 v7, 64, v7
	s_mov_b64 s[10:11], 0
	v_mov_b32_e32 v8, v33
	v_mov_b32_e32 v32, v2
	s_branch .LBB1_206
.LBB1_205:                              ;   in Loop: Header=BB1_206 Depth=1
	s_or_b64 exec, exec, s[12:13]
	v_cmp_gt_u32_e32 vcc, 4, v8
	s_waitcnt lgkmcnt(0)
	v_add_u32_e32 v32, v10, v32
	s_or_b64 s[10:11], vcc, s[10:11]
	v_mov_b32_e32 v8, v9
	s_andn2_b64 exec, exec, s[10:11]
	s_cbranch_execz .LBB1_212
.LBB1_206:                              ; =>This Inner Loop Header: Depth=1
	v_lshrrev_b32_e32 v9, 1, v8
                                        ; implicit-def: $vgpr10
	s_and_saveexec_b64 s[12:13], s[0:1]
	s_xor_b64 s[12:13], exec, s[12:13]
	s_cbranch_execz .LBB1_210
; %bb.207:                              ;   in Loop: Header=BB1_206 Depth=1
	v_cmp_lt_u32_e32 vcc, v9, v5
	v_mov_b32_e32 v10, -1
	s_and_saveexec_b64 s[14:15], vcc
	s_cbranch_execz .LBB1_209
; %bb.208:                              ;   in Loop: Header=BB1_206 Depth=1
	v_cmp_lt_u32_e32 vcc, v9, v4
	v_cndmask_b32_e32 v10, v1, v0, vcc
	v_sub_u32_e32 v11, v9, v4
	v_min_u32_e32 v11, v9, v11
	v_and_b32_e32 v13, 0xffff, v10
	v_add_u32_e32 v11, 1, v11
	v_bcnt_u32_b32 v14, v13, 0
	v_cndmask_b32_e64 v12, 32, 0, vcc
	v_cmp_gt_i32_e32 vcc, v11, v14
	v_cndmask_b32_sdwa v10, v13, v10, vcc dst_sel:DWORD dst_unused:UNUSED_PAD src0_sel:DWORD src1_sel:WORD_1
	v_cndmask_b32_e64 v13, 0, 16, vcc
	v_cndmask_b32_e32 v14, 0, v14, vcc
	v_or_b32_e32 v12, v13, v12
	v_and_b32_e32 v13, 0xff, v10
	v_sub_u32_e32 v11, v11, v14
	v_bcnt_u32_b32 v14, v13, 0
	v_lshrrev_b32_e32 v10, 8, v10
	v_cmp_gt_i32_e32 vcc, v11, v14
	v_cndmask_b32_e32 v10, v13, v10, vcc
	v_cndmask_b32_e32 v13, 0, v14, vcc
	v_and_b32_e32 v14, 15, v10
	v_sub_u32_e32 v11, v11, v13
	v_bcnt_u32_b32 v15, v14, 0
	v_cndmask_b32_e64 v13, 0, 8, vcc
	v_lshrrev_b32_e32 v10, 4, v10
	v_cmp_gt_i32_e32 vcc, v11, v15
	v_cndmask_b32_e32 v10, v14, v10, vcc
	v_cndmask_b32_e32 v14, 0, v15, vcc
	v_sub_u32_e32 v11, v11, v14
	v_cndmask_b32_e64 v14, 0, 4, vcc
	v_or3_b32 v12, v12, v13, v14
	v_and_b32_e32 v13, 3, v10
	v_bcnt_u32_b32 v13, v13, 0
	v_lshrrev_b32_e32 v14, 2, v10
	v_cmp_gt_i32_e32 vcc, v11, v13
	v_cndmask_b32_e32 v13, 0, v13, vcc
	v_cndmask_b32_e32 v10, v10, v14, vcc
	v_sub_u32_e32 v11, v11, v13
	v_and_b32_e32 v10, 1, v10
	v_cndmask_b32_e64 v13, 0, 2, vcc
	v_cmp_gt_i32_e32 vcc, v11, v10
	v_cndmask_b32_e64 v10, 0, 1, vcc
	v_or3_b32 v10, v12, v13, v10
.LBB1_209:                              ;   in Loop: Header=BB1_206 Depth=1
	s_or_b64 exec, exec, s[14:15]
	v_cmp_eq_u32_e32 vcc, -1, v10
	v_cndmask_b32_e32 v10, v10, v3, vcc
	v_and_or_b32 v10, v10, 63, v6
	v_lshlrev_b32_e32 v10, 2, v10
	ds_bpermute_b32 v10, v10, v32
.LBB1_210:                              ;   in Loop: Header=BB1_206 Depth=1
	s_andn2_saveexec_b64 s[12:13], s[12:13]
	s_cbranch_execz .LBB1_205
; %bb.211:                              ;   in Loop: Header=BB1_206 Depth=1
	v_cmp_lt_u32_e32 vcc, v9, v7
	s_waitcnt lgkmcnt(0)
	v_cndmask_b32_e32 v10, 0, v9, vcc
	v_add_lshl_u32 v10, v10, v3, 2
	ds_bpermute_b32 v10, v10, v32
	s_branch .LBB1_205
.LBB1_212:
	s_or_b64 exec, exec, s[10:11]
.LBB1_213:
	s_or_b64 exec, exec, s[6:7]
	v_cmp_eq_u32_e64 s[0:1], 0, v2
	s_and_b64 exec, exec, s[0:1]
	s_cbranch_execz .LBB1_428
; %bb.214:
	s_load_dwordx2 s[6:7], s[2:3], 0x50
	v_mbcnt_lo_u32_b32 v0, -1, 0
	v_mbcnt_hi_u32_b32 v31, -1, v0
	v_readfirstlane_b32 s2, v31
	v_mov_b32_e32 v5, 0
	v_mov_b32_e32 v6, 0
	v_cmp_eq_u32_e64 s[2:3], s2, v31
	s_and_saveexec_b64 s[10:11], s[2:3]
	s_cbranch_execz .LBB1_220
; %bb.215:
	v_mov_b32_e32 v0, 0
	s_waitcnt lgkmcnt(0)
	global_load_dwordx2 v[3:4], v0, s[6:7] offset:24 glc
	s_waitcnt vmcnt(0)
	buffer_wbinvl1_vol
	global_load_dwordx2 v[1:2], v0, s[6:7] offset:40
	global_load_dwordx2 v[5:6], v0, s[6:7]
	s_waitcnt vmcnt(1)
	v_and_b32_e32 v1, v1, v3
	v_and_b32_e32 v2, v2, v4
	v_mul_lo_u32 v2, v2, 24
	v_mul_hi_u32 v7, v1, 24
	v_mul_lo_u32 v1, v1, 24
	v_add_u32_e32 v2, v7, v2
	s_waitcnt vmcnt(0)
	v_add_co_u32_e32 v1, vcc, v5, v1
	v_addc_co_u32_e32 v2, vcc, v6, v2, vcc
	global_load_dwordx2 v[1:2], v[1:2], off glc
	s_waitcnt vmcnt(0)
	global_atomic_cmpswap_x2 v[5:6], v0, v[1:4], s[6:7] offset:24 glc
	s_waitcnt vmcnt(0)
	buffer_wbinvl1_vol
	v_cmp_ne_u64_e32 vcc, v[5:6], v[3:4]
	s_and_saveexec_b64 s[12:13], vcc
	s_cbranch_execz .LBB1_219
; %bb.216:
	s_mov_b64 s[14:15], 0
.LBB1_217:                              ; =>This Inner Loop Header: Depth=1
	s_sleep 1
	global_load_dwordx2 v[1:2], v0, s[6:7] offset:40
	global_load_dwordx2 v[7:8], v0, s[6:7]
	v_mov_b32_e32 v3, v5
	v_mov_b32_e32 v4, v6
	s_waitcnt vmcnt(1)
	v_and_b32_e32 v1, v1, v3
	s_waitcnt vmcnt(0)
	v_mad_u64_u32 v[5:6], s[16:17], v1, 24, v[7:8]
	v_and_b32_e32 v2, v2, v4
	v_mov_b32_e32 v1, v6
	v_mad_u64_u32 v[1:2], s[16:17], v2, 24, v[1:2]
	v_mov_b32_e32 v6, v1
	global_load_dwordx2 v[1:2], v[5:6], off glc
	s_waitcnt vmcnt(0)
	global_atomic_cmpswap_x2 v[5:6], v0, v[1:4], s[6:7] offset:24 glc
	s_waitcnt vmcnt(0)
	buffer_wbinvl1_vol
	v_cmp_eq_u64_e32 vcc, v[5:6], v[3:4]
	s_or_b64 s[14:15], vcc, s[14:15]
	s_andn2_b64 exec, exec, s[14:15]
	s_cbranch_execnz .LBB1_217
; %bb.218:
	s_or_b64 exec, exec, s[14:15]
.LBB1_219:
	s_or_b64 exec, exec, s[12:13]
.LBB1_220:
	s_or_b64 exec, exec, s[10:11]
	v_mov_b32_e32 v4, 0
	s_waitcnt lgkmcnt(0)
	global_load_dwordx2 v[7:8], v4, s[6:7] offset:40
	global_load_dwordx4 v[0:3], v4, s[6:7]
	v_readfirstlane_b32 s11, v6
	v_readfirstlane_b32 s10, v5
	s_mov_b64 s[12:13], exec
	s_waitcnt vmcnt(1)
	v_readfirstlane_b32 s14, v7
	v_readfirstlane_b32 s15, v8
	s_and_b64 s[14:15], s[14:15], s[10:11]
	s_mul_i32 s9, s15, 24
	s_mul_hi_u32 s16, s14, 24
	s_mul_i32 s17, s14, 24
	s_add_i32 s9, s16, s9
	v_mov_b32_e32 v5, s9
	s_waitcnt vmcnt(0)
	v_add_co_u32_e32 v7, vcc, s17, v0
	v_addc_co_u32_e32 v8, vcc, v1, v5, vcc
	s_and_saveexec_b64 s[16:17], s[2:3]
	s_cbranch_execz .LBB1_222
; %bb.221:
	v_mov_b32_e32 v9, s12
	v_mov_b32_e32 v10, s13
	;; [unrolled: 1-line block ×4, first 2 shown]
	global_store_dwordx4 v[7:8], v[9:12], off offset:8
.LBB1_222:
	s_or_b64 exec, exec, s[16:17]
	s_lshl_b64 s[12:13], s[14:15], 12
	v_mov_b32_e32 v5, s13
	v_add_co_u32_e32 v2, vcc, s12, v2
	v_addc_co_u32_e32 v11, vcc, v3, v5, vcc
	v_lshlrev_b32_e32 v30, 6, v31
	s_mov_b32 s12, 0
	v_mov_b32_e32 v3, 33
	v_mov_b32_e32 v5, v4
	v_mov_b32_e32 v6, v4
	v_readfirstlane_b32 s16, v2
	v_readfirstlane_b32 s17, v11
	v_add_co_u32_e32 v9, vcc, v2, v30
	s_mov_b32 s13, s12
	s_mov_b32 s14, s12
	;; [unrolled: 1-line block ×3, first 2 shown]
	s_nop 0
	global_store_dwordx4 v30, v[3:6], s[16:17]
	v_mov_b32_e32 v2, s12
	v_addc_co_u32_e32 v10, vcc, 0, v11, vcc
	v_mov_b32_e32 v3, s13
	v_mov_b32_e32 v4, s14
	;; [unrolled: 1-line block ×3, first 2 shown]
	global_store_dwordx4 v30, v[2:5], s[16:17] offset:16
	global_store_dwordx4 v30, v[2:5], s[16:17] offset:32
	;; [unrolled: 1-line block ×3, first 2 shown]
	s_and_saveexec_b64 s[12:13], s[2:3]
	s_cbranch_execz .LBB1_230
; %bb.223:
	v_mov_b32_e32 v6, 0
	global_load_dwordx2 v[13:14], v6, s[6:7] offset:32 glc
	global_load_dwordx2 v[2:3], v6, s[6:7] offset:40
	v_mov_b32_e32 v11, s10
	v_mov_b32_e32 v12, s11
	s_waitcnt vmcnt(0)
	v_and_b32_e32 v2, s10, v2
	v_and_b32_e32 v3, s11, v3
	v_mul_lo_u32 v3, v3, 24
	v_mul_hi_u32 v4, v2, 24
	v_mul_lo_u32 v2, v2, 24
	v_add_u32_e32 v3, v4, v3
	v_add_co_u32_e32 v4, vcc, v0, v2
	v_addc_co_u32_e32 v5, vcc, v1, v3, vcc
	global_store_dwordx2 v[4:5], v[13:14], off
	s_waitcnt vmcnt(0)
	global_atomic_cmpswap_x2 v[2:3], v6, v[11:14], s[6:7] offset:32 glc
	s_waitcnt vmcnt(0)
	v_cmp_ne_u64_e32 vcc, v[2:3], v[13:14]
	s_and_saveexec_b64 s[14:15], vcc
	s_cbranch_execz .LBB1_226
; %bb.224:
	s_mov_b64 s[16:17], 0
.LBB1_225:                              ; =>This Inner Loop Header: Depth=1
	s_sleep 1
	global_store_dwordx2 v[4:5], v[2:3], off
	v_mov_b32_e32 v0, s10
	v_mov_b32_e32 v1, s11
	s_waitcnt vmcnt(0)
	global_atomic_cmpswap_x2 v[0:1], v6, v[0:3], s[6:7] offset:32 glc
	s_waitcnt vmcnt(0)
	v_cmp_eq_u64_e32 vcc, v[0:1], v[2:3]
	v_mov_b32_e32 v3, v1
	s_or_b64 s[16:17], vcc, s[16:17]
	v_mov_b32_e32 v2, v0
	s_andn2_b64 exec, exec, s[16:17]
	s_cbranch_execnz .LBB1_225
.LBB1_226:
	s_or_b64 exec, exec, s[14:15]
	v_mov_b32_e32 v3, 0
	global_load_dwordx2 v[0:1], v3, s[6:7] offset:16
	s_mov_b64 s[14:15], exec
	v_mbcnt_lo_u32_b32 v2, s14, 0
	v_mbcnt_hi_u32_b32 v2, s15, v2
	v_cmp_eq_u32_e32 vcc, 0, v2
	s_and_saveexec_b64 s[16:17], vcc
	s_cbranch_execz .LBB1_228
; %bb.227:
	s_bcnt1_i32_b64 s9, s[14:15]
	v_mov_b32_e32 v2, s9
	s_waitcnt vmcnt(0)
	global_atomic_add_x2 v[0:1], v[2:3], off offset:8
.LBB1_228:
	s_or_b64 exec, exec, s[16:17]
	s_waitcnt vmcnt(0)
	global_load_dwordx2 v[2:3], v[0:1], off offset:16
	s_waitcnt vmcnt(0)
	v_cmp_eq_u64_e32 vcc, 0, v[2:3]
	s_cbranch_vccnz .LBB1_230
; %bb.229:
	global_load_dword v0, v[0:1], off offset:24
	v_mov_b32_e32 v1, 0
	s_waitcnt vmcnt(0)
	v_readfirstlane_b32 s9, v0
	s_and_b32 m0, s9, 0xffffff
	global_store_dwordx2 v[2:3], v[0:1], off
	s_sendmsg sendmsg(MSG_INTERRUPT)
.LBB1_230:
	s_or_b64 exec, exec, s[12:13]
	s_branch .LBB1_234
.LBB1_231:                              ;   in Loop: Header=BB1_234 Depth=1
	s_or_b64 exec, exec, s[12:13]
	v_readfirstlane_b32 s9, v0
	s_cmp_eq_u32 s9, 0
	s_cbranch_scc1 .LBB1_233
; %bb.232:                              ;   in Loop: Header=BB1_234 Depth=1
	s_sleep 1
	s_cbranch_execnz .LBB1_234
	s_branch .LBB1_236
.LBB1_233:
	s_branch .LBB1_236
.LBB1_234:                              ; =>This Inner Loop Header: Depth=1
	v_mov_b32_e32 v0, 1
	s_and_saveexec_b64 s[12:13], s[2:3]
	s_cbranch_execz .LBB1_231
; %bb.235:                              ;   in Loop: Header=BB1_234 Depth=1
	global_load_dword v0, v[7:8], off offset:20 glc
	s_waitcnt vmcnt(0)
	buffer_wbinvl1_vol
	v_and_b32_e32 v0, 1, v0
	s_branch .LBB1_231
.LBB1_236:
	global_load_dwordx2 v[0:1], v[9:10], off
	s_and_saveexec_b64 s[12:13], s[2:3]
	s_cbranch_execz .LBB1_239
; %bb.237:
	v_mov_b32_e32 v8, 0
	global_load_dwordx2 v[2:3], v8, s[6:7] offset:40
	global_load_dwordx2 v[11:12], v8, s[6:7] offset:24 glc
	global_load_dwordx2 v[4:5], v8, s[6:7]
	s_waitcnt vmcnt(2)
	v_readfirstlane_b32 s14, v2
	v_readfirstlane_b32 s15, v3
	s_add_u32 s9, s14, 1
	s_addc_u32 s16, s15, 0
	s_add_u32 s2, s9, s10
	s_addc_u32 s3, s16, s11
	s_cmp_eq_u64 s[2:3], 0
	s_cselect_b32 s3, s16, s3
	s_cselect_b32 s2, s9, s2
	s_and_b64 s[10:11], s[2:3], s[14:15]
	s_mul_i32 s9, s11, 24
	s_mul_hi_u32 s11, s10, 24
	s_mul_i32 s10, s10, 24
	s_add_i32 s9, s11, s9
	v_mov_b32_e32 v2, s9
	s_waitcnt vmcnt(0)
	v_add_co_u32_e32 v6, vcc, s10, v4
	v_addc_co_u32_e32 v7, vcc, v5, v2, vcc
	v_mov_b32_e32 v9, s2
	global_store_dwordx2 v[6:7], v[11:12], off
	v_mov_b32_e32 v10, s3
	s_waitcnt vmcnt(0)
	global_atomic_cmpswap_x2 v[4:5], v8, v[9:12], s[6:7] offset:24 glc
	s_mov_b64 s[10:11], 0
	s_waitcnt vmcnt(0)
	v_cmp_ne_u64_e32 vcc, v[4:5], v[11:12]
	s_and_b64 exec, exec, vcc
	s_cbranch_execz .LBB1_239
.LBB1_238:                              ; =>This Inner Loop Header: Depth=1
	s_sleep 1
	global_store_dwordx2 v[6:7], v[4:5], off
	v_mov_b32_e32 v2, s2
	v_mov_b32_e32 v3, s3
	s_waitcnt vmcnt(0)
	global_atomic_cmpswap_x2 v[2:3], v8, v[2:5], s[6:7] offset:24 glc
	s_waitcnt vmcnt(0)
	v_cmp_eq_u64_e32 vcc, v[2:3], v[4:5]
	v_mov_b32_e32 v5, v3
	s_or_b64 s[10:11], vcc, s[10:11]
	v_mov_b32_e32 v4, v2
	s_andn2_b64 exec, exec, s[10:11]
	s_cbranch_execnz .LBB1_238
.LBB1_239:
	s_or_b64 exec, exec, s[12:13]
	s_getpc_b64 s[10:11]
	s_add_u32 s10, s10, .str.1@rel32@lo+4
	s_addc_u32 s11, s11, .str.1@rel32@hi+12
	s_cmp_lg_u64 s[10:11], 0
	s_cbranch_scc0 .LBB1_325
; %bb.240:
	s_waitcnt vmcnt(0)
	v_and_b32_e32 v34, 2, v0
	v_mov_b32_e32 v26, 0
	v_and_b32_e32 v2, -3, v0
	v_mov_b32_e32 v3, v1
	s_mov_b64 s[12:13], 0x5c
	v_mov_b32_e32 v8, 2
	v_mov_b32_e32 v9, 1
	s_branch .LBB1_242
.LBB1_241:                              ;   in Loop: Header=BB1_242 Depth=1
	s_or_b64 exec, exec, s[18:19]
	s_sub_u32 s12, s12, s14
	s_subb_u32 s13, s13, s15
	s_add_u32 s10, s10, s14
	s_addc_u32 s11, s11, s15
	s_cmp_lg_u64 s[12:13], 0
	s_cbranch_scc0 .LBB1_324
.LBB1_242:                              ; =>This Loop Header: Depth=1
                                        ;     Child Loop BB1_245 Depth 2
                                        ;     Child Loop BB1_253 Depth 2
	;; [unrolled: 1-line block ×11, first 2 shown]
	v_cmp_lt_u64_e64 s[2:3], s[12:13], 56
	v_cmp_gt_u64_e64 s[16:17], s[12:13], 7
	s_and_b64 s[2:3], s[2:3], exec
	s_cselect_b32 s15, s13, 0
	s_cselect_b32 s14, s12, 56
	s_add_u32 s2, s10, 8
	s_addc_u32 s3, s11, 0
	s_and_b64 vcc, exec, s[16:17]
	s_cbranch_vccnz .LBB1_246
; %bb.243:                              ;   in Loop: Header=BB1_242 Depth=1
	s_cmp_eq_u64 s[12:13], 0
	s_cbranch_scc1 .LBB1_247
; %bb.244:                              ;   in Loop: Header=BB1_242 Depth=1
	v_mov_b32_e32 v4, 0
	s_lshl_b64 s[2:3], s[14:15], 3
	s_mov_b64 s[16:17], 0
	v_mov_b32_e32 v5, 0
	s_mov_b64 s[18:19], s[10:11]
.LBB1_245:                              ;   Parent Loop BB1_242 Depth=1
                                        ; =>  This Inner Loop Header: Depth=2
	global_load_ubyte v6, v26, s[18:19]
	s_waitcnt vmcnt(0)
	v_and_b32_e32 v25, 0xffff, v6
	v_lshlrev_b64 v[6:7], s16, v[25:26]
	s_add_u32 s16, s16, 8
	s_addc_u32 s17, s17, 0
	s_add_u32 s18, s18, 1
	s_addc_u32 s19, s19, 0
	v_or_b32_e32 v4, v6, v4
	s_cmp_lg_u32 s2, s16
	v_or_b32_e32 v5, v7, v5
	s_cbranch_scc1 .LBB1_245
	s_branch .LBB1_248
.LBB1_246:                              ;   in Loop: Header=BB1_242 Depth=1
	s_mov_b32 s9, 0
	s_branch .LBB1_249
.LBB1_247:                              ;   in Loop: Header=BB1_242 Depth=1
	v_mov_b32_e32 v4, 0
	v_mov_b32_e32 v5, 0
.LBB1_248:                              ;   in Loop: Header=BB1_242 Depth=1
	s_mov_b64 s[2:3], s[10:11]
	s_mov_b32 s9, 0
	s_cbranch_execnz .LBB1_250
.LBB1_249:                              ;   in Loop: Header=BB1_242 Depth=1
	global_load_dwordx2 v[4:5], v26, s[10:11]
	s_add_i32 s9, s14, -8
.LBB1_250:                              ;   in Loop: Header=BB1_242 Depth=1
	s_add_u32 s16, s2, 8
	s_addc_u32 s17, s3, 0
	s_cmp_gt_u32 s9, 7
	s_cbranch_scc1 .LBB1_254
; %bb.251:                              ;   in Loop: Header=BB1_242 Depth=1
	s_cmp_eq_u32 s9, 0
	s_cbranch_scc1 .LBB1_255
; %bb.252:                              ;   in Loop: Header=BB1_242 Depth=1
	v_mov_b32_e32 v10, 0
	s_mov_b64 s[16:17], 0
	v_mov_b32_e32 v11, 0
	s_mov_b64 s[18:19], 0
.LBB1_253:                              ;   Parent Loop BB1_242 Depth=1
                                        ; =>  This Inner Loop Header: Depth=2
	s_add_u32 s20, s2, s18
	s_addc_u32 s21, s3, s19
	global_load_ubyte v6, v26, s[20:21]
	s_add_u32 s18, s18, 1
	s_addc_u32 s19, s19, 0
	s_waitcnt vmcnt(0)
	v_and_b32_e32 v25, 0xffff, v6
	v_lshlrev_b64 v[6:7], s16, v[25:26]
	s_add_u32 s16, s16, 8
	s_addc_u32 s17, s17, 0
	v_or_b32_e32 v10, v6, v10
	s_cmp_lg_u32 s9, s18
	v_or_b32_e32 v11, v7, v11
	s_cbranch_scc1 .LBB1_253
	s_branch .LBB1_256
.LBB1_254:                              ;   in Loop: Header=BB1_242 Depth=1
                                        ; implicit-def: $vgpr10_vgpr11
	s_mov_b32 s20, 0
	s_branch .LBB1_257
.LBB1_255:                              ;   in Loop: Header=BB1_242 Depth=1
	v_mov_b32_e32 v10, 0
	v_mov_b32_e32 v11, 0
.LBB1_256:                              ;   in Loop: Header=BB1_242 Depth=1
	s_mov_b64 s[16:17], s[2:3]
	s_mov_b32 s20, 0
	s_cbranch_execnz .LBB1_258
.LBB1_257:                              ;   in Loop: Header=BB1_242 Depth=1
	global_load_dwordx2 v[10:11], v26, s[2:3]
	s_add_i32 s20, s9, -8
.LBB1_258:                              ;   in Loop: Header=BB1_242 Depth=1
	s_add_u32 s2, s16, 8
	s_addc_u32 s3, s17, 0
	s_cmp_gt_u32 s20, 7
	s_cbranch_scc1 .LBB1_262
; %bb.259:                              ;   in Loop: Header=BB1_242 Depth=1
	s_cmp_eq_u32 s20, 0
	s_cbranch_scc1 .LBB1_263
; %bb.260:                              ;   in Loop: Header=BB1_242 Depth=1
	v_mov_b32_e32 v12, 0
	s_mov_b64 s[2:3], 0
	v_mov_b32_e32 v13, 0
	s_mov_b64 s[18:19], 0
.LBB1_261:                              ;   Parent Loop BB1_242 Depth=1
                                        ; =>  This Inner Loop Header: Depth=2
	s_add_u32 s22, s16, s18
	s_addc_u32 s23, s17, s19
	global_load_ubyte v6, v26, s[22:23]
	s_add_u32 s18, s18, 1
	s_addc_u32 s19, s19, 0
	s_waitcnt vmcnt(0)
	v_and_b32_e32 v25, 0xffff, v6
	v_lshlrev_b64 v[6:7], s2, v[25:26]
	s_add_u32 s2, s2, 8
	s_addc_u32 s3, s3, 0
	v_or_b32_e32 v12, v6, v12
	s_cmp_lg_u32 s20, s18
	v_or_b32_e32 v13, v7, v13
	s_cbranch_scc1 .LBB1_261
	s_branch .LBB1_264
.LBB1_262:                              ;   in Loop: Header=BB1_242 Depth=1
	s_mov_b32 s9, 0
	s_branch .LBB1_265
.LBB1_263:                              ;   in Loop: Header=BB1_242 Depth=1
	v_mov_b32_e32 v12, 0
	v_mov_b32_e32 v13, 0
.LBB1_264:                              ;   in Loop: Header=BB1_242 Depth=1
	s_mov_b64 s[2:3], s[16:17]
	s_mov_b32 s9, 0
	s_cbranch_execnz .LBB1_266
.LBB1_265:                              ;   in Loop: Header=BB1_242 Depth=1
	global_load_dwordx2 v[12:13], v26, s[16:17]
	s_add_i32 s9, s20, -8
.LBB1_266:                              ;   in Loop: Header=BB1_242 Depth=1
	s_add_u32 s16, s2, 8
	s_addc_u32 s17, s3, 0
	s_cmp_gt_u32 s9, 7
	s_cbranch_scc1 .LBB1_270
; %bb.267:                              ;   in Loop: Header=BB1_242 Depth=1
	s_cmp_eq_u32 s9, 0
	s_cbranch_scc1 .LBB1_271
; %bb.268:                              ;   in Loop: Header=BB1_242 Depth=1
	v_mov_b32_e32 v14, 0
	s_mov_b64 s[16:17], 0
	v_mov_b32_e32 v15, 0
	s_mov_b64 s[18:19], 0
.LBB1_269:                              ;   Parent Loop BB1_242 Depth=1
                                        ; =>  This Inner Loop Header: Depth=2
	s_add_u32 s20, s2, s18
	s_addc_u32 s21, s3, s19
	global_load_ubyte v6, v26, s[20:21]
	s_add_u32 s18, s18, 1
	s_addc_u32 s19, s19, 0
	s_waitcnt vmcnt(0)
	v_and_b32_e32 v25, 0xffff, v6
	v_lshlrev_b64 v[6:7], s16, v[25:26]
	s_add_u32 s16, s16, 8
	s_addc_u32 s17, s17, 0
	v_or_b32_e32 v14, v6, v14
	s_cmp_lg_u32 s9, s18
	v_or_b32_e32 v15, v7, v15
	s_cbranch_scc1 .LBB1_269
	s_branch .LBB1_272
.LBB1_270:                              ;   in Loop: Header=BB1_242 Depth=1
                                        ; implicit-def: $vgpr14_vgpr15
	s_mov_b32 s20, 0
	s_branch .LBB1_273
.LBB1_271:                              ;   in Loop: Header=BB1_242 Depth=1
	v_mov_b32_e32 v14, 0
	v_mov_b32_e32 v15, 0
.LBB1_272:                              ;   in Loop: Header=BB1_242 Depth=1
	s_mov_b64 s[16:17], s[2:3]
	s_mov_b32 s20, 0
	s_cbranch_execnz .LBB1_274
.LBB1_273:                              ;   in Loop: Header=BB1_242 Depth=1
	global_load_dwordx2 v[14:15], v26, s[2:3]
	s_add_i32 s20, s9, -8
.LBB1_274:                              ;   in Loop: Header=BB1_242 Depth=1
	s_add_u32 s2, s16, 8
	s_addc_u32 s3, s17, 0
	s_cmp_gt_u32 s20, 7
	s_cbranch_scc1 .LBB1_278
; %bb.275:                              ;   in Loop: Header=BB1_242 Depth=1
	s_cmp_eq_u32 s20, 0
	s_cbranch_scc1 .LBB1_279
; %bb.276:                              ;   in Loop: Header=BB1_242 Depth=1
	v_mov_b32_e32 v16, 0
	s_mov_b64 s[2:3], 0
	v_mov_b32_e32 v17, 0
	s_mov_b64 s[18:19], 0
.LBB1_277:                              ;   Parent Loop BB1_242 Depth=1
                                        ; =>  This Inner Loop Header: Depth=2
	s_add_u32 s22, s16, s18
	s_addc_u32 s23, s17, s19
	global_load_ubyte v6, v26, s[22:23]
	s_add_u32 s18, s18, 1
	s_addc_u32 s19, s19, 0
	s_waitcnt vmcnt(0)
	v_and_b32_e32 v25, 0xffff, v6
	v_lshlrev_b64 v[6:7], s2, v[25:26]
	s_add_u32 s2, s2, 8
	s_addc_u32 s3, s3, 0
	v_or_b32_e32 v16, v6, v16
	s_cmp_lg_u32 s20, s18
	v_or_b32_e32 v17, v7, v17
	s_cbranch_scc1 .LBB1_277
	s_branch .LBB1_280
.LBB1_278:                              ;   in Loop: Header=BB1_242 Depth=1
	s_mov_b32 s9, 0
	s_branch .LBB1_281
.LBB1_279:                              ;   in Loop: Header=BB1_242 Depth=1
	v_mov_b32_e32 v16, 0
	v_mov_b32_e32 v17, 0
.LBB1_280:                              ;   in Loop: Header=BB1_242 Depth=1
	s_mov_b64 s[2:3], s[16:17]
	s_mov_b32 s9, 0
	s_cbranch_execnz .LBB1_282
.LBB1_281:                              ;   in Loop: Header=BB1_242 Depth=1
	global_load_dwordx2 v[16:17], v26, s[16:17]
	s_add_i32 s9, s20, -8
.LBB1_282:                              ;   in Loop: Header=BB1_242 Depth=1
	s_add_u32 s16, s2, 8
	s_addc_u32 s17, s3, 0
	s_cmp_gt_u32 s9, 7
	s_cbranch_scc1 .LBB1_286
; %bb.283:                              ;   in Loop: Header=BB1_242 Depth=1
	s_cmp_eq_u32 s9, 0
	s_cbranch_scc1 .LBB1_287
; %bb.284:                              ;   in Loop: Header=BB1_242 Depth=1
	v_mov_b32_e32 v18, 0
	s_mov_b64 s[16:17], 0
	v_mov_b32_e32 v19, 0
	s_mov_b64 s[18:19], 0
.LBB1_285:                              ;   Parent Loop BB1_242 Depth=1
                                        ; =>  This Inner Loop Header: Depth=2
	s_add_u32 s20, s2, s18
	s_addc_u32 s21, s3, s19
	global_load_ubyte v6, v26, s[20:21]
	s_add_u32 s18, s18, 1
	s_addc_u32 s19, s19, 0
	s_waitcnt vmcnt(0)
	v_and_b32_e32 v25, 0xffff, v6
	v_lshlrev_b64 v[6:7], s16, v[25:26]
	s_add_u32 s16, s16, 8
	s_addc_u32 s17, s17, 0
	v_or_b32_e32 v18, v6, v18
	s_cmp_lg_u32 s9, s18
	v_or_b32_e32 v19, v7, v19
	s_cbranch_scc1 .LBB1_285
	s_branch .LBB1_288
.LBB1_286:                              ;   in Loop: Header=BB1_242 Depth=1
                                        ; implicit-def: $vgpr18_vgpr19
	s_mov_b32 s20, 0
	s_branch .LBB1_289
.LBB1_287:                              ;   in Loop: Header=BB1_242 Depth=1
	v_mov_b32_e32 v18, 0
	v_mov_b32_e32 v19, 0
.LBB1_288:                              ;   in Loop: Header=BB1_242 Depth=1
	s_mov_b64 s[16:17], s[2:3]
	s_mov_b32 s20, 0
	s_cbranch_execnz .LBB1_290
.LBB1_289:                              ;   in Loop: Header=BB1_242 Depth=1
	global_load_dwordx2 v[18:19], v26, s[2:3]
	s_add_i32 s20, s9, -8
.LBB1_290:                              ;   in Loop: Header=BB1_242 Depth=1
	s_cmp_gt_u32 s20, 7
	s_cbranch_scc1 .LBB1_294
; %bb.291:                              ;   in Loop: Header=BB1_242 Depth=1
	s_cmp_eq_u32 s20, 0
	s_cbranch_scc1 .LBB1_295
; %bb.292:                              ;   in Loop: Header=BB1_242 Depth=1
	v_mov_b32_e32 v20, 0
	s_mov_b64 s[2:3], 0
	v_mov_b32_e32 v21, 0
	s_mov_b64 s[18:19], s[16:17]
.LBB1_293:                              ;   Parent Loop BB1_242 Depth=1
                                        ; =>  This Inner Loop Header: Depth=2
	global_load_ubyte v6, v26, s[18:19]
	s_add_i32 s20, s20, -1
	s_waitcnt vmcnt(0)
	v_and_b32_e32 v25, 0xffff, v6
	v_lshlrev_b64 v[6:7], s2, v[25:26]
	s_add_u32 s2, s2, 8
	s_addc_u32 s3, s3, 0
	s_add_u32 s18, s18, 1
	s_addc_u32 s19, s19, 0
	v_or_b32_e32 v20, v6, v20
	s_cmp_lg_u32 s20, 0
	v_or_b32_e32 v21, v7, v21
	s_cbranch_scc1 .LBB1_293
	s_branch .LBB1_296
.LBB1_294:                              ;   in Loop: Header=BB1_242 Depth=1
	s_branch .LBB1_297
.LBB1_295:                              ;   in Loop: Header=BB1_242 Depth=1
	v_mov_b32_e32 v20, 0
	v_mov_b32_e32 v21, 0
.LBB1_296:                              ;   in Loop: Header=BB1_242 Depth=1
	s_cbranch_execnz .LBB1_298
.LBB1_297:                              ;   in Loop: Header=BB1_242 Depth=1
	global_load_dwordx2 v[20:21], v26, s[16:17]
.LBB1_298:                              ;   in Loop: Header=BB1_242 Depth=1
	v_readfirstlane_b32 s2, v31
	v_mov_b32_e32 v6, 0
	v_mov_b32_e32 v7, 0
	v_cmp_eq_u32_e64 s[2:3], s2, v31
	s_and_saveexec_b64 s[16:17], s[2:3]
	s_cbranch_execz .LBB1_304
; %bb.299:                              ;   in Loop: Header=BB1_242 Depth=1
	global_load_dwordx2 v[24:25], v26, s[6:7] offset:24 glc
	s_waitcnt vmcnt(0)
	buffer_wbinvl1_vol
	global_load_dwordx2 v[6:7], v26, s[6:7] offset:40
	global_load_dwordx2 v[22:23], v26, s[6:7]
	s_waitcnt vmcnt(1)
	v_and_b32_e32 v6, v6, v24
	v_and_b32_e32 v7, v7, v25
	v_mul_lo_u32 v7, v7, 24
	v_mul_hi_u32 v27, v6, 24
	v_mul_lo_u32 v6, v6, 24
	v_add_u32_e32 v7, v27, v7
	s_waitcnt vmcnt(0)
	v_add_co_u32_e32 v6, vcc, v22, v6
	v_addc_co_u32_e32 v7, vcc, v23, v7, vcc
	global_load_dwordx2 v[22:23], v[6:7], off glc
	s_waitcnt vmcnt(0)
	global_atomic_cmpswap_x2 v[6:7], v26, v[22:25], s[6:7] offset:24 glc
	s_waitcnt vmcnt(0)
	buffer_wbinvl1_vol
	v_cmp_ne_u64_e32 vcc, v[6:7], v[24:25]
	s_and_saveexec_b64 s[18:19], vcc
	s_cbranch_execz .LBB1_303
; %bb.300:                              ;   in Loop: Header=BB1_242 Depth=1
	s_mov_b64 s[20:21], 0
.LBB1_301:                              ;   Parent Loop BB1_242 Depth=1
                                        ; =>  This Inner Loop Header: Depth=2
	s_sleep 1
	global_load_dwordx2 v[22:23], v26, s[6:7] offset:40
	global_load_dwordx2 v[27:28], v26, s[6:7]
	v_mov_b32_e32 v25, v7
	v_mov_b32_e32 v24, v6
	s_waitcnt vmcnt(1)
	v_and_b32_e32 v6, v22, v24
	s_waitcnt vmcnt(0)
	v_mad_u64_u32 v[6:7], s[22:23], v6, 24, v[27:28]
	v_and_b32_e32 v22, v23, v25
	v_mad_u64_u32 v[22:23], s[22:23], v22, 24, v[7:8]
	v_mov_b32_e32 v7, v22
	global_load_dwordx2 v[22:23], v[6:7], off glc
	s_waitcnt vmcnt(0)
	global_atomic_cmpswap_x2 v[6:7], v26, v[22:25], s[6:7] offset:24 glc
	s_waitcnt vmcnt(0)
	buffer_wbinvl1_vol
	v_cmp_eq_u64_e32 vcc, v[6:7], v[24:25]
	s_or_b64 s[20:21], vcc, s[20:21]
	s_andn2_b64 exec, exec, s[20:21]
	s_cbranch_execnz .LBB1_301
; %bb.302:                              ;   in Loop: Header=BB1_242 Depth=1
	s_or_b64 exec, exec, s[20:21]
.LBB1_303:                              ;   in Loop: Header=BB1_242 Depth=1
	s_or_b64 exec, exec, s[18:19]
.LBB1_304:                              ;   in Loop: Header=BB1_242 Depth=1
	s_or_b64 exec, exec, s[16:17]
	global_load_dwordx2 v[27:28], v26, s[6:7] offset:40
	global_load_dwordx4 v[22:25], v26, s[6:7]
	v_readfirstlane_b32 s17, v7
	v_readfirstlane_b32 s16, v6
	s_mov_b64 s[18:19], exec
	s_waitcnt vmcnt(1)
	v_readfirstlane_b32 s20, v27
	v_readfirstlane_b32 s21, v28
	s_and_b64 s[20:21], s[20:21], s[16:17]
	s_mul_i32 s9, s21, 24
	s_mul_hi_u32 s22, s20, 24
	s_mul_i32 s23, s20, 24
	s_add_i32 s9, s22, s9
	v_mov_b32_e32 v6, s9
	s_waitcnt vmcnt(0)
	v_add_co_u32_e32 v27, vcc, s23, v22
	v_addc_co_u32_e32 v28, vcc, v23, v6, vcc
	s_and_saveexec_b64 s[22:23], s[2:3]
	s_cbranch_execz .LBB1_306
; %bb.305:                              ;   in Loop: Header=BB1_242 Depth=1
	v_mov_b32_e32 v6, s18
	v_mov_b32_e32 v7, s19
	global_store_dwordx4 v[27:28], v[6:9], off offset:8
.LBB1_306:                              ;   in Loop: Header=BB1_242 Depth=1
	s_or_b64 exec, exec, s[22:23]
	s_lshl_b64 s[18:19], s[20:21], 12
	v_mov_b32_e32 v6, s19
	v_add_co_u32_e32 v24, vcc, s18, v24
	v_addc_co_u32_e32 v35, vcc, v25, v6, vcc
	v_cmp_lt_u64_e64 vcc, s[12:13], 57
	s_lshl_b32 s9, s14, 2
	v_cndmask_b32_e32 v6, 0, v34, vcc
	s_add_i32 s9, s9, 28
	v_and_b32_e32 v2, 0xffffff1f, v2
	s_and_b32 s9, s9, 0x1e0
	v_or_b32_e32 v2, v2, v6
	v_or_b32_e32 v2, s9, v2
	v_readfirstlane_b32 s18, v24
	v_readfirstlane_b32 s19, v35
	s_nop 4
	global_store_dwordx4 v30, v[2:5], s[18:19]
	global_store_dwordx4 v30, v[10:13], s[18:19] offset:16
	global_store_dwordx4 v30, v[14:17], s[18:19] offset:32
	;; [unrolled: 1-line block ×3, first 2 shown]
	s_and_saveexec_b64 s[18:19], s[2:3]
	s_cbranch_execz .LBB1_314
; %bb.307:                              ;   in Loop: Header=BB1_242 Depth=1
	global_load_dwordx2 v[12:13], v26, s[6:7] offset:32 glc
	global_load_dwordx2 v[2:3], v26, s[6:7] offset:40
	v_mov_b32_e32 v10, s16
	v_mov_b32_e32 v11, s17
	s_waitcnt vmcnt(0)
	v_readfirstlane_b32 s20, v2
	v_readfirstlane_b32 s21, v3
	s_and_b64 s[20:21], s[20:21], s[16:17]
	s_mul_i32 s9, s21, 24
	s_mul_hi_u32 s21, s20, 24
	s_mul_i32 s20, s20, 24
	s_add_i32 s9, s21, s9
	v_mov_b32_e32 v2, s9
	v_add_co_u32_e32 v6, vcc, s20, v22
	v_addc_co_u32_e32 v7, vcc, v23, v2, vcc
	global_store_dwordx2 v[6:7], v[12:13], off
	s_waitcnt vmcnt(0)
	global_atomic_cmpswap_x2 v[4:5], v26, v[10:13], s[6:7] offset:32 glc
	s_waitcnt vmcnt(0)
	v_cmp_ne_u64_e32 vcc, v[4:5], v[12:13]
	s_and_saveexec_b64 s[20:21], vcc
	s_cbranch_execz .LBB1_310
; %bb.308:                              ;   in Loop: Header=BB1_242 Depth=1
	s_mov_b64 s[22:23], 0
.LBB1_309:                              ;   Parent Loop BB1_242 Depth=1
                                        ; =>  This Inner Loop Header: Depth=2
	s_sleep 1
	global_store_dwordx2 v[6:7], v[4:5], off
	v_mov_b32_e32 v2, s16
	v_mov_b32_e32 v3, s17
	s_waitcnt vmcnt(0)
	global_atomic_cmpswap_x2 v[2:3], v26, v[2:5], s[6:7] offset:32 glc
	s_waitcnt vmcnt(0)
	v_cmp_eq_u64_e32 vcc, v[2:3], v[4:5]
	v_mov_b32_e32 v5, v3
	s_or_b64 s[22:23], vcc, s[22:23]
	v_mov_b32_e32 v4, v2
	s_andn2_b64 exec, exec, s[22:23]
	s_cbranch_execnz .LBB1_309
.LBB1_310:                              ;   in Loop: Header=BB1_242 Depth=1
	s_or_b64 exec, exec, s[20:21]
	global_load_dwordx2 v[2:3], v26, s[6:7] offset:16
	s_mov_b64 s[22:23], exec
	v_mbcnt_lo_u32_b32 v4, s22, 0
	v_mbcnt_hi_u32_b32 v4, s23, v4
	v_cmp_eq_u32_e32 vcc, 0, v4
	s_and_saveexec_b64 s[20:21], vcc
	s_cbranch_execz .LBB1_312
; %bb.311:                              ;   in Loop: Header=BB1_242 Depth=1
	s_bcnt1_i32_b64 s9, s[22:23]
	v_mov_b32_e32 v25, s9
	s_waitcnt vmcnt(0)
	global_atomic_add_x2 v[2:3], v[25:26], off offset:8
.LBB1_312:                              ;   in Loop: Header=BB1_242 Depth=1
	s_or_b64 exec, exec, s[20:21]
	s_waitcnt vmcnt(0)
	global_load_dwordx2 v[4:5], v[2:3], off offset:16
	s_waitcnt vmcnt(0)
	v_cmp_eq_u64_e32 vcc, 0, v[4:5]
	s_cbranch_vccnz .LBB1_314
; %bb.313:                              ;   in Loop: Header=BB1_242 Depth=1
	global_load_dword v25, v[2:3], off offset:24
	s_waitcnt vmcnt(0)
	v_readfirstlane_b32 s9, v25
	s_and_b32 m0, s9, 0xffffff
	global_store_dwordx2 v[4:5], v[25:26], off
	s_sendmsg sendmsg(MSG_INTERRUPT)
.LBB1_314:                              ;   in Loop: Header=BB1_242 Depth=1
	s_or_b64 exec, exec, s[18:19]
	v_add_co_u32_e32 v2, vcc, v24, v30
	v_addc_co_u32_e32 v3, vcc, 0, v35, vcc
	s_branch .LBB1_318
.LBB1_315:                              ;   in Loop: Header=BB1_318 Depth=2
	s_or_b64 exec, exec, s[18:19]
	v_readfirstlane_b32 s9, v4
	s_cmp_eq_u32 s9, 0
	s_cbranch_scc1 .LBB1_317
; %bb.316:                              ;   in Loop: Header=BB1_318 Depth=2
	s_sleep 1
	s_cbranch_execnz .LBB1_318
	s_branch .LBB1_320
.LBB1_317:                              ;   in Loop: Header=BB1_242 Depth=1
	s_branch .LBB1_320
.LBB1_318:                              ;   Parent Loop BB1_242 Depth=1
                                        ; =>  This Inner Loop Header: Depth=2
	v_mov_b32_e32 v4, 1
	s_and_saveexec_b64 s[18:19], s[2:3]
	s_cbranch_execz .LBB1_315
; %bb.319:                              ;   in Loop: Header=BB1_318 Depth=2
	global_load_dword v4, v[27:28], off offset:20 glc
	s_waitcnt vmcnt(0)
	buffer_wbinvl1_vol
	v_and_b32_e32 v4, 1, v4
	s_branch .LBB1_315
.LBB1_320:                              ;   in Loop: Header=BB1_242 Depth=1
	global_load_dwordx2 v[2:3], v[2:3], off
	s_and_saveexec_b64 s[18:19], s[2:3]
	s_cbranch_execz .LBB1_241
; %bb.321:                              ;   in Loop: Header=BB1_242 Depth=1
	global_load_dwordx2 v[4:5], v26, s[6:7] offset:40
	global_load_dwordx2 v[14:15], v26, s[6:7] offset:24 glc
	global_load_dwordx2 v[6:7], v26, s[6:7]
	s_waitcnt vmcnt(2)
	v_readfirstlane_b32 s20, v4
	v_readfirstlane_b32 s21, v5
	s_add_u32 s9, s20, 1
	s_addc_u32 s22, s21, 0
	s_add_u32 s2, s9, s16
	s_addc_u32 s3, s22, s17
	s_cmp_eq_u64 s[2:3], 0
	s_cselect_b32 s3, s22, s3
	s_cselect_b32 s2, s9, s2
	s_and_b64 s[16:17], s[2:3], s[20:21]
	s_mul_i32 s9, s17, 24
	s_mul_hi_u32 s17, s16, 24
	s_mul_i32 s16, s16, 24
	s_add_i32 s9, s17, s9
	v_mov_b32_e32 v4, s9
	s_waitcnt vmcnt(0)
	v_add_co_u32_e32 v10, vcc, s16, v6
	v_addc_co_u32_e32 v11, vcc, v7, v4, vcc
	v_mov_b32_e32 v12, s2
	global_store_dwordx2 v[10:11], v[14:15], off
	v_mov_b32_e32 v13, s3
	s_waitcnt vmcnt(0)
	global_atomic_cmpswap_x2 v[6:7], v26, v[12:15], s[6:7] offset:24 glc
	s_waitcnt vmcnt(0)
	v_cmp_ne_u64_e32 vcc, v[6:7], v[14:15]
	s_and_b64 exec, exec, vcc
	s_cbranch_execz .LBB1_241
; %bb.322:                              ;   in Loop: Header=BB1_242 Depth=1
	s_mov_b64 s[16:17], 0
.LBB1_323:                              ;   Parent Loop BB1_242 Depth=1
                                        ; =>  This Inner Loop Header: Depth=2
	s_sleep 1
	global_store_dwordx2 v[10:11], v[6:7], off
	v_mov_b32_e32 v4, s2
	v_mov_b32_e32 v5, s3
	s_waitcnt vmcnt(0)
	global_atomic_cmpswap_x2 v[4:5], v26, v[4:7], s[6:7] offset:24 glc
	s_waitcnt vmcnt(0)
	v_cmp_eq_u64_e32 vcc, v[4:5], v[6:7]
	v_mov_b32_e32 v7, v5
	s_or_b64 s[16:17], vcc, s[16:17]
	v_mov_b32_e32 v6, v4
	s_andn2_b64 exec, exec, s[16:17]
	s_cbranch_execnz .LBB1_323
	s_branch .LBB1_241
.LBB1_324:
	s_branch .LBB1_352
.LBB1_325:
                                        ; implicit-def: $vgpr2_vgpr3
	s_cbranch_execz .LBB1_352
; %bb.326:
	v_readfirstlane_b32 s2, v31
	v_mov_b32_e32 v8, 0
	v_mov_b32_e32 v9, 0
	v_cmp_eq_u32_e64 s[2:3], s2, v31
	s_and_saveexec_b64 s[10:11], s[2:3]
	s_cbranch_execz .LBB1_332
; %bb.327:
	s_waitcnt vmcnt(0)
	v_mov_b32_e32 v2, 0
	global_load_dwordx2 v[5:6], v2, s[6:7] offset:24 glc
	s_waitcnt vmcnt(0)
	buffer_wbinvl1_vol
	global_load_dwordx2 v[3:4], v2, s[6:7] offset:40
	global_load_dwordx2 v[7:8], v2, s[6:7]
	s_waitcnt vmcnt(1)
	v_and_b32_e32 v3, v3, v5
	v_and_b32_e32 v4, v4, v6
	v_mul_lo_u32 v4, v4, 24
	v_mul_hi_u32 v9, v3, 24
	v_mul_lo_u32 v3, v3, 24
	v_add_u32_e32 v4, v9, v4
	s_waitcnt vmcnt(0)
	v_add_co_u32_e32 v3, vcc, v7, v3
	v_addc_co_u32_e32 v4, vcc, v8, v4, vcc
	global_load_dwordx2 v[3:4], v[3:4], off glc
	s_waitcnt vmcnt(0)
	global_atomic_cmpswap_x2 v[8:9], v2, v[3:6], s[6:7] offset:24 glc
	s_waitcnt vmcnt(0)
	buffer_wbinvl1_vol
	v_cmp_ne_u64_e32 vcc, v[8:9], v[5:6]
	s_and_saveexec_b64 s[12:13], vcc
	s_cbranch_execz .LBB1_331
; %bb.328:
	s_mov_b64 s[14:15], 0
.LBB1_329:                              ; =>This Inner Loop Header: Depth=1
	s_sleep 1
	global_load_dwordx2 v[3:4], v2, s[6:7] offset:40
	global_load_dwordx2 v[10:11], v2, s[6:7]
	v_mov_b32_e32 v5, v8
	v_mov_b32_e32 v6, v9
	s_waitcnt vmcnt(1)
	v_and_b32_e32 v3, v3, v5
	s_waitcnt vmcnt(0)
	v_mad_u64_u32 v[7:8], s[16:17], v3, 24, v[10:11]
	v_and_b32_e32 v4, v4, v6
	v_mov_b32_e32 v3, v8
	v_mad_u64_u32 v[3:4], s[16:17], v4, 24, v[3:4]
	v_mov_b32_e32 v8, v3
	global_load_dwordx2 v[3:4], v[7:8], off glc
	s_waitcnt vmcnt(0)
	global_atomic_cmpswap_x2 v[8:9], v2, v[3:6], s[6:7] offset:24 glc
	s_waitcnt vmcnt(0)
	buffer_wbinvl1_vol
	v_cmp_eq_u64_e32 vcc, v[8:9], v[5:6]
	s_or_b64 s[14:15], vcc, s[14:15]
	s_andn2_b64 exec, exec, s[14:15]
	s_cbranch_execnz .LBB1_329
; %bb.330:
	s_or_b64 exec, exec, s[14:15]
.LBB1_331:
	s_or_b64 exec, exec, s[12:13]
.LBB1_332:
	s_or_b64 exec, exec, s[10:11]
	s_waitcnt vmcnt(0)
	v_mov_b32_e32 v2, 0
	global_load_dwordx2 v[10:11], v2, s[6:7] offset:40
	global_load_dwordx4 v[4:7], v2, s[6:7]
	v_readfirstlane_b32 s11, v9
	v_readfirstlane_b32 s10, v8
	s_mov_b64 s[12:13], exec
	s_waitcnt vmcnt(1)
	v_readfirstlane_b32 s14, v10
	v_readfirstlane_b32 s15, v11
	s_and_b64 s[14:15], s[14:15], s[10:11]
	s_mul_i32 s9, s15, 24
	s_mul_hi_u32 s16, s14, 24
	s_mul_i32 s17, s14, 24
	s_add_i32 s9, s16, s9
	v_mov_b32_e32 v3, s9
	s_waitcnt vmcnt(0)
	v_add_co_u32_e32 v8, vcc, s17, v4
	v_addc_co_u32_e32 v9, vcc, v5, v3, vcc
	s_and_saveexec_b64 s[16:17], s[2:3]
	s_cbranch_execz .LBB1_334
; %bb.333:
	v_mov_b32_e32 v10, s12
	v_mov_b32_e32 v11, s13
	;; [unrolled: 1-line block ×4, first 2 shown]
	global_store_dwordx4 v[8:9], v[10:13], off offset:8
.LBB1_334:
	s_or_b64 exec, exec, s[16:17]
	s_lshl_b64 s[12:13], s[14:15], 12
	v_mov_b32_e32 v3, s13
	v_add_co_u32_e32 v10, vcc, s12, v6
	v_addc_co_u32_e32 v11, vcc, v7, v3, vcc
	s_movk_i32 s9, 0xff1f
	v_and_or_b32 v0, v0, s9, 32
	s_mov_b32 s12, 0
	v_mov_b32_e32 v3, v2
	v_readfirstlane_b32 s16, v10
	v_readfirstlane_b32 s17, v11
	v_add_co_u32_e32 v6, vcc, v10, v30
	s_mov_b32 s13, s12
	s_mov_b32 s14, s12
	;; [unrolled: 1-line block ×3, first 2 shown]
	s_nop 0
	global_store_dwordx4 v30, v[0:3], s[16:17]
	v_addc_co_u32_e32 v7, vcc, 0, v11, vcc
	v_mov_b32_e32 v0, s12
	v_mov_b32_e32 v1, s13
	v_mov_b32_e32 v2, s14
	v_mov_b32_e32 v3, s15
	global_store_dwordx4 v30, v[0:3], s[16:17] offset:16
	global_store_dwordx4 v30, v[0:3], s[16:17] offset:32
	;; [unrolled: 1-line block ×3, first 2 shown]
	s_and_saveexec_b64 s[12:13], s[2:3]
	s_cbranch_execz .LBB1_342
; %bb.335:
	v_mov_b32_e32 v10, 0
	global_load_dwordx2 v[13:14], v10, s[6:7] offset:32 glc
	global_load_dwordx2 v[0:1], v10, s[6:7] offset:40
	v_mov_b32_e32 v11, s10
	v_mov_b32_e32 v12, s11
	s_waitcnt vmcnt(0)
	v_readfirstlane_b32 s14, v0
	v_readfirstlane_b32 s15, v1
	s_and_b64 s[14:15], s[14:15], s[10:11]
	s_mul_i32 s9, s15, 24
	s_mul_hi_u32 s15, s14, 24
	s_mul_i32 s14, s14, 24
	s_add_i32 s9, s15, s9
	v_mov_b32_e32 v0, s9
	v_add_co_u32_e32 v4, vcc, s14, v4
	v_addc_co_u32_e32 v5, vcc, v5, v0, vcc
	global_store_dwordx2 v[4:5], v[13:14], off
	s_waitcnt vmcnt(0)
	global_atomic_cmpswap_x2 v[2:3], v10, v[11:14], s[6:7] offset:32 glc
	s_waitcnt vmcnt(0)
	v_cmp_ne_u64_e32 vcc, v[2:3], v[13:14]
	s_and_saveexec_b64 s[14:15], vcc
	s_cbranch_execz .LBB1_338
; %bb.336:
	s_mov_b64 s[16:17], 0
.LBB1_337:                              ; =>This Inner Loop Header: Depth=1
	s_sleep 1
	global_store_dwordx2 v[4:5], v[2:3], off
	v_mov_b32_e32 v0, s10
	v_mov_b32_e32 v1, s11
	s_waitcnt vmcnt(0)
	global_atomic_cmpswap_x2 v[0:1], v10, v[0:3], s[6:7] offset:32 glc
	s_waitcnt vmcnt(0)
	v_cmp_eq_u64_e32 vcc, v[0:1], v[2:3]
	v_mov_b32_e32 v3, v1
	s_or_b64 s[16:17], vcc, s[16:17]
	v_mov_b32_e32 v2, v0
	s_andn2_b64 exec, exec, s[16:17]
	s_cbranch_execnz .LBB1_337
.LBB1_338:
	s_or_b64 exec, exec, s[14:15]
	v_mov_b32_e32 v3, 0
	global_load_dwordx2 v[0:1], v3, s[6:7] offset:16
	s_mov_b64 s[14:15], exec
	v_mbcnt_lo_u32_b32 v2, s14, 0
	v_mbcnt_hi_u32_b32 v2, s15, v2
	v_cmp_eq_u32_e32 vcc, 0, v2
	s_and_saveexec_b64 s[16:17], vcc
	s_cbranch_execz .LBB1_340
; %bb.339:
	s_bcnt1_i32_b64 s9, s[14:15]
	v_mov_b32_e32 v2, s9
	s_waitcnt vmcnt(0)
	global_atomic_add_x2 v[0:1], v[2:3], off offset:8
.LBB1_340:
	s_or_b64 exec, exec, s[16:17]
	s_waitcnt vmcnt(0)
	global_load_dwordx2 v[2:3], v[0:1], off offset:16
	s_waitcnt vmcnt(0)
	v_cmp_eq_u64_e32 vcc, 0, v[2:3]
	s_cbranch_vccnz .LBB1_342
; %bb.341:
	global_load_dword v0, v[0:1], off offset:24
	v_mov_b32_e32 v1, 0
	s_waitcnt vmcnt(0)
	v_readfirstlane_b32 s9, v0
	s_and_b32 m0, s9, 0xffffff
	global_store_dwordx2 v[2:3], v[0:1], off
	s_sendmsg sendmsg(MSG_INTERRUPT)
.LBB1_342:
	s_or_b64 exec, exec, s[12:13]
	s_branch .LBB1_346
.LBB1_343:                              ;   in Loop: Header=BB1_346 Depth=1
	s_or_b64 exec, exec, s[12:13]
	v_readfirstlane_b32 s9, v0
	s_cmp_eq_u32 s9, 0
	s_cbranch_scc1 .LBB1_345
; %bb.344:                              ;   in Loop: Header=BB1_346 Depth=1
	s_sleep 1
	s_cbranch_execnz .LBB1_346
	s_branch .LBB1_348
.LBB1_345:
	s_branch .LBB1_348
.LBB1_346:                              ; =>This Inner Loop Header: Depth=1
	v_mov_b32_e32 v0, 1
	s_and_saveexec_b64 s[12:13], s[2:3]
	s_cbranch_execz .LBB1_343
; %bb.347:                              ;   in Loop: Header=BB1_346 Depth=1
	global_load_dword v0, v[8:9], off offset:20 glc
	s_waitcnt vmcnt(0)
	buffer_wbinvl1_vol
	v_and_b32_e32 v0, 1, v0
	s_branch .LBB1_343
.LBB1_348:
	global_load_dwordx2 v[2:3], v[6:7], off
	s_and_saveexec_b64 s[12:13], s[2:3]
	s_cbranch_execz .LBB1_351
; %bb.349:
	v_mov_b32_e32 v8, 0
	global_load_dwordx2 v[0:1], v8, s[6:7] offset:40
	global_load_dwordx2 v[11:12], v8, s[6:7] offset:24 glc
	global_load_dwordx2 v[4:5], v8, s[6:7]
	s_waitcnt vmcnt(2)
	v_readfirstlane_b32 s14, v0
	v_readfirstlane_b32 s15, v1
	s_add_u32 s9, s14, 1
	s_addc_u32 s16, s15, 0
	s_add_u32 s2, s9, s10
	s_addc_u32 s3, s16, s11
	s_cmp_eq_u64 s[2:3], 0
	s_cselect_b32 s3, s16, s3
	s_cselect_b32 s2, s9, s2
	s_and_b64 s[10:11], s[2:3], s[14:15]
	s_mul_i32 s9, s11, 24
	s_mul_hi_u32 s11, s10, 24
	s_mul_i32 s10, s10, 24
	s_add_i32 s9, s11, s9
	v_mov_b32_e32 v1, s9
	s_waitcnt vmcnt(0)
	v_add_co_u32_e32 v0, vcc, s10, v4
	v_addc_co_u32_e32 v1, vcc, v5, v1, vcc
	v_mov_b32_e32 v9, s2
	global_store_dwordx2 v[0:1], v[11:12], off
	v_mov_b32_e32 v10, s3
	s_waitcnt vmcnt(0)
	global_atomic_cmpswap_x2 v[6:7], v8, v[9:12], s[6:7] offset:24 glc
	s_mov_b64 s[10:11], 0
	s_waitcnt vmcnt(0)
	v_cmp_ne_u64_e32 vcc, v[6:7], v[11:12]
	s_and_b64 exec, exec, vcc
	s_cbranch_execz .LBB1_351
.LBB1_350:                              ; =>This Inner Loop Header: Depth=1
	s_sleep 1
	global_store_dwordx2 v[0:1], v[6:7], off
	v_mov_b32_e32 v4, s2
	v_mov_b32_e32 v5, s3
	s_waitcnt vmcnt(0)
	global_atomic_cmpswap_x2 v[4:5], v8, v[4:7], s[6:7] offset:24 glc
	s_waitcnt vmcnt(0)
	v_cmp_eq_u64_e32 vcc, v[4:5], v[6:7]
	v_mov_b32_e32 v7, v5
	s_or_b64 s[10:11], vcc, s[10:11]
	v_mov_b32_e32 v6, v4
	s_andn2_b64 exec, exec, s[10:11]
	s_cbranch_execnz .LBB1_350
.LBB1_351:
	s_or_b64 exec, exec, s[12:13]
.LBB1_352:
	v_readfirstlane_b32 s2, v31
	s_waitcnt vmcnt(0)
	v_mov_b32_e32 v0, 0
	v_mov_b32_e32 v1, 0
	v_cmp_eq_u32_e64 s[2:3], s2, v31
	s_and_saveexec_b64 s[10:11], s[2:3]
	s_cbranch_execz .LBB1_358
; %bb.353:
	v_mov_b32_e32 v4, 0
	global_load_dwordx2 v[7:8], v4, s[6:7] offset:24 glc
	s_waitcnt vmcnt(0)
	buffer_wbinvl1_vol
	global_load_dwordx2 v[0:1], v4, s[6:7] offset:40
	global_load_dwordx2 v[5:6], v4, s[6:7]
	s_waitcnt vmcnt(1)
	v_and_b32_e32 v0, v0, v7
	v_and_b32_e32 v1, v1, v8
	v_mul_lo_u32 v1, v1, 24
	v_mul_hi_u32 v9, v0, 24
	v_mul_lo_u32 v0, v0, 24
	v_add_u32_e32 v1, v9, v1
	s_waitcnt vmcnt(0)
	v_add_co_u32_e32 v0, vcc, v5, v0
	v_addc_co_u32_e32 v1, vcc, v6, v1, vcc
	global_load_dwordx2 v[5:6], v[0:1], off glc
	s_waitcnt vmcnt(0)
	global_atomic_cmpswap_x2 v[0:1], v4, v[5:8], s[6:7] offset:24 glc
	s_waitcnt vmcnt(0)
	buffer_wbinvl1_vol
	v_cmp_ne_u64_e32 vcc, v[0:1], v[7:8]
	s_and_saveexec_b64 s[12:13], vcc
	s_cbranch_execz .LBB1_357
; %bb.354:
	s_mov_b64 s[14:15], 0
.LBB1_355:                              ; =>This Inner Loop Header: Depth=1
	s_sleep 1
	global_load_dwordx2 v[5:6], v4, s[6:7] offset:40
	global_load_dwordx2 v[9:10], v4, s[6:7]
	v_mov_b32_e32 v8, v1
	v_mov_b32_e32 v7, v0
	s_waitcnt vmcnt(1)
	v_and_b32_e32 v0, v5, v7
	s_waitcnt vmcnt(0)
	v_mad_u64_u32 v[0:1], s[16:17], v0, 24, v[9:10]
	v_and_b32_e32 v5, v6, v8
	v_mad_u64_u32 v[5:6], s[16:17], v5, 24, v[1:2]
	v_mov_b32_e32 v1, v5
	global_load_dwordx2 v[5:6], v[0:1], off glc
	s_waitcnt vmcnt(0)
	global_atomic_cmpswap_x2 v[0:1], v4, v[5:8], s[6:7] offset:24 glc
	s_waitcnt vmcnt(0)
	buffer_wbinvl1_vol
	v_cmp_eq_u64_e32 vcc, v[0:1], v[7:8]
	s_or_b64 s[14:15], vcc, s[14:15]
	s_andn2_b64 exec, exec, s[14:15]
	s_cbranch_execnz .LBB1_355
; %bb.356:
	s_or_b64 exec, exec, s[14:15]
.LBB1_357:
	s_or_b64 exec, exec, s[12:13]
.LBB1_358:
	s_or_b64 exec, exec, s[10:11]
	v_mov_b32_e32 v5, 0
	global_load_dwordx2 v[10:11], v5, s[6:7] offset:40
	global_load_dwordx4 v[6:9], v5, s[6:7]
	v_readfirstlane_b32 s11, v1
	v_readfirstlane_b32 s10, v0
	s_mov_b64 s[12:13], exec
	s_waitcnt vmcnt(1)
	v_readfirstlane_b32 s14, v10
	v_readfirstlane_b32 s15, v11
	s_and_b64 s[14:15], s[14:15], s[10:11]
	s_mul_i32 s9, s15, 24
	s_mul_hi_u32 s16, s14, 24
	s_mul_i32 s17, s14, 24
	s_add_i32 s9, s16, s9
	v_mov_b32_e32 v0, s9
	s_waitcnt vmcnt(0)
	v_add_co_u32_e32 v10, vcc, s17, v6
	v_addc_co_u32_e32 v11, vcc, v7, v0, vcc
	s_and_saveexec_b64 s[16:17], s[2:3]
	s_cbranch_execz .LBB1_360
; %bb.359:
	v_mov_b32_e32 v12, s12
	v_mov_b32_e32 v13, s13
	;; [unrolled: 1-line block ×4, first 2 shown]
	global_store_dwordx4 v[10:11], v[12:15], off offset:8
.LBB1_360:
	s_or_b64 exec, exec, s[16:17]
	s_lshl_b64 s[12:13], s[14:15], 12
	v_mov_b32_e32 v0, s13
	v_add_co_u32_e32 v1, vcc, s12, v8
	v_addc_co_u32_e32 v0, vcc, v9, v0, vcc
	s_movk_i32 s9, 0xff1f
	v_add_u32_e32 v4, -1, v33
	v_and_or_b32 v2, v2, s9, 32
	v_add_co_u32_e32 v8, vcc, v1, v30
	v_readfirstlane_b32 s16, v1
	v_readfirstlane_b32 s17, v0
	s_mov_b32 s12, 0
	v_addc_co_u32_e32 v9, vcc, 0, v0, vcc
	s_mov_b32 s13, s12
	s_mov_b32 s14, s12
	s_nop 0
	global_store_dwordx4 v30, v[2:5], s[16:17]
	s_mov_b32 s15, s12
	v_mov_b32_e32 v0, s12
	v_mov_b32_e32 v1, s13
	;; [unrolled: 1-line block ×4, first 2 shown]
	global_store_dwordx4 v30, v[0:3], s[16:17] offset:16
	global_store_dwordx4 v30, v[0:3], s[16:17] offset:32
	;; [unrolled: 1-line block ×3, first 2 shown]
	s_and_saveexec_b64 s[12:13], s[2:3]
	s_cbranch_execz .LBB1_368
; %bb.361:
	v_mov_b32_e32 v12, 0
	global_load_dwordx2 v[15:16], v12, s[6:7] offset:32 glc
	global_load_dwordx2 v[0:1], v12, s[6:7] offset:40
	v_mov_b32_e32 v13, s10
	v_mov_b32_e32 v14, s11
	s_waitcnt vmcnt(0)
	v_readfirstlane_b32 s14, v0
	v_readfirstlane_b32 s15, v1
	s_and_b64 s[14:15], s[14:15], s[10:11]
	s_mul_i32 s9, s15, 24
	s_mul_hi_u32 s15, s14, 24
	s_mul_i32 s14, s14, 24
	s_add_i32 s9, s15, s9
	v_mov_b32_e32 v0, s9
	v_add_co_u32_e32 v4, vcc, s14, v6
	v_addc_co_u32_e32 v5, vcc, v7, v0, vcc
	global_store_dwordx2 v[4:5], v[15:16], off
	s_waitcnt vmcnt(0)
	global_atomic_cmpswap_x2 v[2:3], v12, v[13:16], s[6:7] offset:32 glc
	s_waitcnt vmcnt(0)
	v_cmp_ne_u64_e32 vcc, v[2:3], v[15:16]
	s_and_saveexec_b64 s[14:15], vcc
	s_cbranch_execz .LBB1_364
; %bb.362:
	s_mov_b64 s[16:17], 0
.LBB1_363:                              ; =>This Inner Loop Header: Depth=1
	s_sleep 1
	global_store_dwordx2 v[4:5], v[2:3], off
	v_mov_b32_e32 v0, s10
	v_mov_b32_e32 v1, s11
	s_waitcnt vmcnt(0)
	global_atomic_cmpswap_x2 v[0:1], v12, v[0:3], s[6:7] offset:32 glc
	s_waitcnt vmcnt(0)
	v_cmp_eq_u64_e32 vcc, v[0:1], v[2:3]
	v_mov_b32_e32 v3, v1
	s_or_b64 s[16:17], vcc, s[16:17]
	v_mov_b32_e32 v2, v0
	s_andn2_b64 exec, exec, s[16:17]
	s_cbranch_execnz .LBB1_363
.LBB1_364:
	s_or_b64 exec, exec, s[14:15]
	v_mov_b32_e32 v3, 0
	global_load_dwordx2 v[0:1], v3, s[6:7] offset:16
	s_mov_b64 s[14:15], exec
	v_mbcnt_lo_u32_b32 v2, s14, 0
	v_mbcnt_hi_u32_b32 v2, s15, v2
	v_cmp_eq_u32_e32 vcc, 0, v2
	s_and_saveexec_b64 s[16:17], vcc
	s_cbranch_execz .LBB1_366
; %bb.365:
	s_bcnt1_i32_b64 s9, s[14:15]
	v_mov_b32_e32 v2, s9
	s_waitcnt vmcnt(0)
	global_atomic_add_x2 v[0:1], v[2:3], off offset:8
.LBB1_366:
	s_or_b64 exec, exec, s[16:17]
	s_waitcnt vmcnt(0)
	global_load_dwordx2 v[2:3], v[0:1], off offset:16
	s_waitcnt vmcnt(0)
	v_cmp_eq_u64_e32 vcc, 0, v[2:3]
	s_cbranch_vccnz .LBB1_368
; %bb.367:
	global_load_dword v0, v[0:1], off offset:24
	v_mov_b32_e32 v1, 0
	s_waitcnt vmcnt(0)
	v_readfirstlane_b32 s9, v0
	s_and_b32 m0, s9, 0xffffff
	global_store_dwordx2 v[2:3], v[0:1], off
	s_sendmsg sendmsg(MSG_INTERRUPT)
.LBB1_368:
	s_or_b64 exec, exec, s[12:13]
	s_branch .LBB1_372
.LBB1_369:                              ;   in Loop: Header=BB1_372 Depth=1
	s_or_b64 exec, exec, s[12:13]
	v_readfirstlane_b32 s9, v0
	s_cmp_eq_u32 s9, 0
	s_cbranch_scc1 .LBB1_371
; %bb.370:                              ;   in Loop: Header=BB1_372 Depth=1
	s_sleep 1
	s_cbranch_execnz .LBB1_372
	s_branch .LBB1_374
.LBB1_371:
	s_branch .LBB1_374
.LBB1_372:                              ; =>This Inner Loop Header: Depth=1
	v_mov_b32_e32 v0, 1
	s_and_saveexec_b64 s[12:13], s[2:3]
	s_cbranch_execz .LBB1_369
; %bb.373:                              ;   in Loop: Header=BB1_372 Depth=1
	global_load_dword v0, v[10:11], off offset:20 glc
	s_waitcnt vmcnt(0)
	buffer_wbinvl1_vol
	v_and_b32_e32 v0, 1, v0
	s_branch .LBB1_369
.LBB1_374:
	global_load_dwordx2 v[0:1], v[8:9], off
	s_and_saveexec_b64 s[12:13], s[2:3]
	s_cbranch_execz .LBB1_377
; %bb.375:
	v_mov_b32_e32 v8, 0
	global_load_dwordx2 v[2:3], v8, s[6:7] offset:40
	global_load_dwordx2 v[11:12], v8, s[6:7] offset:24 glc
	global_load_dwordx2 v[4:5], v8, s[6:7]
	s_waitcnt vmcnt(2)
	v_readfirstlane_b32 s14, v2
	v_readfirstlane_b32 s15, v3
	s_add_u32 s9, s14, 1
	s_addc_u32 s16, s15, 0
	s_add_u32 s2, s9, s10
	s_addc_u32 s3, s16, s11
	s_cmp_eq_u64 s[2:3], 0
	s_cselect_b32 s3, s16, s3
	s_cselect_b32 s2, s9, s2
	s_and_b64 s[10:11], s[2:3], s[14:15]
	s_mul_i32 s9, s11, 24
	s_mul_hi_u32 s11, s10, 24
	s_mul_i32 s10, s10, 24
	s_add_i32 s9, s11, s9
	v_mov_b32_e32 v2, s9
	s_waitcnt vmcnt(0)
	v_add_co_u32_e32 v6, vcc, s10, v4
	v_addc_co_u32_e32 v7, vcc, v5, v2, vcc
	v_mov_b32_e32 v9, s2
	global_store_dwordx2 v[6:7], v[11:12], off
	v_mov_b32_e32 v10, s3
	s_waitcnt vmcnt(0)
	global_atomic_cmpswap_x2 v[4:5], v8, v[9:12], s[6:7] offset:24 glc
	s_mov_b64 s[10:11], 0
	s_waitcnt vmcnt(0)
	v_cmp_ne_u64_e32 vcc, v[4:5], v[11:12]
	s_and_b64 exec, exec, vcc
	s_cbranch_execz .LBB1_377
.LBB1_376:                              ; =>This Inner Loop Header: Depth=1
	s_sleep 1
	global_store_dwordx2 v[6:7], v[4:5], off
	v_mov_b32_e32 v2, s2
	v_mov_b32_e32 v3, s3
	s_waitcnt vmcnt(0)
	global_atomic_cmpswap_x2 v[2:3], v8, v[2:5], s[6:7] offset:24 glc
	s_waitcnt vmcnt(0)
	v_cmp_eq_u64_e32 vcc, v[2:3], v[4:5]
	v_mov_b32_e32 v5, v3
	s_or_b64 s[10:11], vcc, s[10:11]
	v_mov_b32_e32 v4, v2
	s_andn2_b64 exec, exec, s[10:11]
	s_cbranch_execnz .LBB1_376
.LBB1_377:
	s_or_b64 exec, exec, s[12:13]
	v_readfirstlane_b32 s2, v31
	v_mov_b32_e32 v8, 0
	v_mov_b32_e32 v9, 0
	v_cmp_eq_u32_e64 s[2:3], s2, v31
	s_and_saveexec_b64 s[10:11], s[2:3]
	s_cbranch_execz .LBB1_383
; %bb.378:
	v_mov_b32_e32 v2, 0
	global_load_dwordx2 v[5:6], v2, s[6:7] offset:24 glc
	s_waitcnt vmcnt(0)
	buffer_wbinvl1_vol
	global_load_dwordx2 v[3:4], v2, s[6:7] offset:40
	global_load_dwordx2 v[7:8], v2, s[6:7]
	s_waitcnt vmcnt(1)
	v_and_b32_e32 v3, v3, v5
	v_and_b32_e32 v4, v4, v6
	v_mul_lo_u32 v4, v4, 24
	v_mul_hi_u32 v9, v3, 24
	v_mul_lo_u32 v3, v3, 24
	v_add_u32_e32 v4, v9, v4
	s_waitcnt vmcnt(0)
	v_add_co_u32_e32 v3, vcc, v7, v3
	v_addc_co_u32_e32 v4, vcc, v8, v4, vcc
	global_load_dwordx2 v[3:4], v[3:4], off glc
	s_waitcnt vmcnt(0)
	global_atomic_cmpswap_x2 v[8:9], v2, v[3:6], s[6:7] offset:24 glc
	s_waitcnt vmcnt(0)
	buffer_wbinvl1_vol
	v_cmp_ne_u64_e32 vcc, v[8:9], v[5:6]
	s_and_saveexec_b64 s[12:13], vcc
	s_cbranch_execz .LBB1_382
; %bb.379:
	s_mov_b64 s[14:15], 0
.LBB1_380:                              ; =>This Inner Loop Header: Depth=1
	s_sleep 1
	global_load_dwordx2 v[3:4], v2, s[6:7] offset:40
	global_load_dwordx2 v[10:11], v2, s[6:7]
	v_mov_b32_e32 v5, v8
	v_mov_b32_e32 v6, v9
	s_waitcnt vmcnt(1)
	v_and_b32_e32 v3, v3, v5
	s_waitcnt vmcnt(0)
	v_mad_u64_u32 v[7:8], s[16:17], v3, 24, v[10:11]
	v_and_b32_e32 v4, v4, v6
	v_mov_b32_e32 v3, v8
	v_mad_u64_u32 v[3:4], s[16:17], v4, 24, v[3:4]
	v_mov_b32_e32 v8, v3
	global_load_dwordx2 v[3:4], v[7:8], off glc
	s_waitcnt vmcnt(0)
	global_atomic_cmpswap_x2 v[8:9], v2, v[3:6], s[6:7] offset:24 glc
	s_waitcnt vmcnt(0)
	buffer_wbinvl1_vol
	v_cmp_eq_u64_e32 vcc, v[8:9], v[5:6]
	s_or_b64 s[14:15], vcc, s[14:15]
	s_andn2_b64 exec, exec, s[14:15]
	s_cbranch_execnz .LBB1_380
; %bb.381:
	s_or_b64 exec, exec, s[14:15]
.LBB1_382:
	s_or_b64 exec, exec, s[12:13]
.LBB1_383:
	s_or_b64 exec, exec, s[10:11]
	v_mov_b32_e32 v3, 0
	global_load_dwordx2 v[10:11], v3, s[6:7] offset:40
	global_load_dwordx4 v[4:7], v3, s[6:7]
	v_readfirstlane_b32 s11, v9
	v_readfirstlane_b32 s10, v8
	s_mov_b64 s[12:13], exec
	s_waitcnt vmcnt(1)
	v_readfirstlane_b32 s14, v10
	v_readfirstlane_b32 s15, v11
	s_and_b64 s[14:15], s[14:15], s[10:11]
	s_mul_i32 s9, s15, 24
	s_mul_hi_u32 s16, s14, 24
	s_mul_i32 s17, s14, 24
	s_add_i32 s9, s16, s9
	v_mov_b32_e32 v2, s9
	s_waitcnt vmcnt(0)
	v_add_co_u32_e32 v8, vcc, s17, v4
	v_addc_co_u32_e32 v9, vcc, v5, v2, vcc
	s_and_saveexec_b64 s[16:17], s[2:3]
	s_cbranch_execz .LBB1_385
; %bb.384:
	v_mov_b32_e32 v10, s12
	v_mov_b32_e32 v11, s13
	;; [unrolled: 1-line block ×4, first 2 shown]
	global_store_dwordx4 v[8:9], v[10:13], off offset:8
.LBB1_385:
	s_or_b64 exec, exec, s[16:17]
	s_lshl_b64 s[12:13], s[14:15], 12
	v_mov_b32_e32 v2, s13
	v_add_co_u32_e32 v6, vcc, s12, v6
	v_addc_co_u32_e32 v7, vcc, v7, v2, vcc
	s_mov_b32 s12, 0
	v_cndmask_b32_e64 v2, -1, v32, s[0:1]
	s_movk_i32 s0, 0xff1f
	v_add_co_u32_e32 v10, vcc, v6, v30
	s_mov_b32 s13, s12
	s_mov_b32 s14, s12
	;; [unrolled: 1-line block ×3, first 2 shown]
	v_mov_b32_e32 v12, s12
	v_and_or_b32 v0, v0, s0, 32
	v_addc_co_u32_e32 v11, vcc, 0, v7, vcc
	v_readfirstlane_b32 s0, v6
	v_readfirstlane_b32 s1, v7
	v_mov_b32_e32 v13, s13
	v_mov_b32_e32 v14, s14
	;; [unrolled: 1-line block ×3, first 2 shown]
	s_nop 1
	global_store_dwordx4 v30, v[0:3], s[0:1]
	global_store_dwordx4 v30, v[12:15], s[0:1] offset:16
	global_store_dwordx4 v30, v[12:15], s[0:1] offset:32
	global_store_dwordx4 v30, v[12:15], s[0:1] offset:48
	s_and_saveexec_b64 s[0:1], s[2:3]
	s_cbranch_execz .LBB1_393
; %bb.386:
	v_mov_b32_e32 v7, 0
	global_load_dwordx2 v[14:15], v7, s[6:7] offset:32 glc
	global_load_dwordx2 v[0:1], v7, s[6:7] offset:40
	v_mov_b32_e32 v12, s10
	v_mov_b32_e32 v13, s11
	s_waitcnt vmcnt(0)
	v_readfirstlane_b32 s12, v0
	v_readfirstlane_b32 s13, v1
	s_and_b64 s[12:13], s[12:13], s[10:11]
	s_mul_i32 s9, s13, 24
	s_mul_hi_u32 s13, s12, 24
	s_mul_i32 s12, s12, 24
	s_add_i32 s9, s13, s9
	v_mov_b32_e32 v1, s9
	v_add_co_u32_e32 v0, vcc, s12, v4
	v_addc_co_u32_e32 v1, vcc, v5, v1, vcc
	global_store_dwordx2 v[0:1], v[14:15], off
	s_waitcnt vmcnt(0)
	global_atomic_cmpswap_x2 v[5:6], v7, v[12:15], s[6:7] offset:32 glc
	s_waitcnt vmcnt(0)
	v_cmp_ne_u64_e32 vcc, v[5:6], v[14:15]
	s_and_saveexec_b64 s[12:13], vcc
	s_cbranch_execz .LBB1_389
; %bb.387:
	s_mov_b64 s[14:15], 0
.LBB1_388:                              ; =>This Inner Loop Header: Depth=1
	s_sleep 1
	global_store_dwordx2 v[0:1], v[5:6], off
	v_mov_b32_e32 v3, s10
	v_mov_b32_e32 v4, s11
	s_waitcnt vmcnt(0)
	global_atomic_cmpswap_x2 v[3:4], v7, v[3:6], s[6:7] offset:32 glc
	s_waitcnt vmcnt(0)
	v_cmp_eq_u64_e32 vcc, v[3:4], v[5:6]
	v_mov_b32_e32 v6, v4
	s_or_b64 s[14:15], vcc, s[14:15]
	v_mov_b32_e32 v5, v3
	s_andn2_b64 exec, exec, s[14:15]
	s_cbranch_execnz .LBB1_388
.LBB1_389:
	s_or_b64 exec, exec, s[12:13]
	v_mov_b32_e32 v4, 0
	global_load_dwordx2 v[0:1], v4, s[6:7] offset:16
	s_mov_b64 s[12:13], exec
	v_mbcnt_lo_u32_b32 v3, s12, 0
	v_mbcnt_hi_u32_b32 v3, s13, v3
	v_cmp_eq_u32_e32 vcc, 0, v3
	s_and_saveexec_b64 s[14:15], vcc
	s_cbranch_execz .LBB1_391
; %bb.390:
	s_bcnt1_i32_b64 s9, s[12:13]
	v_mov_b32_e32 v3, s9
	s_waitcnt vmcnt(0)
	global_atomic_add_x2 v[0:1], v[3:4], off offset:8
.LBB1_391:
	s_or_b64 exec, exec, s[14:15]
	s_waitcnt vmcnt(0)
	global_load_dwordx2 v[3:4], v[0:1], off offset:16
	s_waitcnt vmcnt(0)
	v_cmp_eq_u64_e32 vcc, 0, v[3:4]
	s_cbranch_vccnz .LBB1_393
; %bb.392:
	global_load_dword v0, v[0:1], off offset:24
	v_mov_b32_e32 v1, 0
	s_waitcnt vmcnt(0)
	v_readfirstlane_b32 s9, v0
	s_and_b32 m0, s9, 0xffffff
	global_store_dwordx2 v[3:4], v[0:1], off
	s_sendmsg sendmsg(MSG_INTERRUPT)
.LBB1_393:
	s_or_b64 exec, exec, s[0:1]
	s_branch .LBB1_397
.LBB1_394:                              ;   in Loop: Header=BB1_397 Depth=1
	s_or_b64 exec, exec, s[0:1]
	v_readfirstlane_b32 s0, v0
	s_cmp_eq_u32 s0, 0
	s_cbranch_scc1 .LBB1_396
; %bb.395:                              ;   in Loop: Header=BB1_397 Depth=1
	s_sleep 1
	s_cbranch_execnz .LBB1_397
	s_branch .LBB1_399
.LBB1_396:
	s_branch .LBB1_399
.LBB1_397:                              ; =>This Inner Loop Header: Depth=1
	v_mov_b32_e32 v0, 1
	s_and_saveexec_b64 s[0:1], s[2:3]
	s_cbranch_execz .LBB1_394
; %bb.398:                              ;   in Loop: Header=BB1_397 Depth=1
	global_load_dword v0, v[8:9], off offset:20 glc
	s_waitcnt vmcnt(0)
	buffer_wbinvl1_vol
	v_and_b32_e32 v0, 1, v0
	s_branch .LBB1_394
.LBB1_399:
	global_load_dwordx2 v[3:4], v[10:11], off
	s_and_saveexec_b64 s[0:1], s[2:3]
	s_cbranch_execz .LBB1_402
; %bb.400:
	v_mov_b32_e32 v9, 0
	global_load_dwordx2 v[0:1], v9, s[6:7] offset:40
	global_load_dwordx2 v[12:13], v9, s[6:7] offset:24 glc
	global_load_dwordx2 v[5:6], v9, s[6:7]
	s_waitcnt vmcnt(2)
	v_readfirstlane_b32 s12, v0
	v_readfirstlane_b32 s13, v1
	s_add_u32 s9, s12, 1
	s_addc_u32 s14, s13, 0
	s_add_u32 s2, s9, s10
	s_addc_u32 s3, s14, s11
	s_cmp_eq_u64 s[2:3], 0
	s_cselect_b32 s3, s14, s3
	s_cselect_b32 s2, s9, s2
	s_and_b64 s[10:11], s[2:3], s[12:13]
	s_mul_i32 s9, s11, 24
	s_mul_hi_u32 s11, s10, 24
	s_mul_i32 s10, s10, 24
	s_add_i32 s9, s11, s9
	v_mov_b32_e32 v1, s9
	s_waitcnt vmcnt(0)
	v_add_co_u32_e32 v0, vcc, s10, v5
	v_addc_co_u32_e32 v1, vcc, v6, v1, vcc
	v_mov_b32_e32 v10, s2
	global_store_dwordx2 v[0:1], v[12:13], off
	v_mov_b32_e32 v11, s3
	s_waitcnt vmcnt(0)
	global_atomic_cmpswap_x2 v[7:8], v9, v[10:13], s[6:7] offset:24 glc
	s_mov_b64 s[10:11], 0
	s_waitcnt vmcnt(0)
	v_cmp_ne_u64_e32 vcc, v[7:8], v[12:13]
	s_and_b64 exec, exec, vcc
	s_cbranch_execz .LBB1_402
.LBB1_401:                              ; =>This Inner Loop Header: Depth=1
	s_sleep 1
	global_store_dwordx2 v[0:1], v[7:8], off
	v_mov_b32_e32 v5, s2
	v_mov_b32_e32 v6, s3
	s_waitcnt vmcnt(0)
	global_atomic_cmpswap_x2 v[5:6], v9, v[5:8], s[6:7] offset:24 glc
	s_waitcnt vmcnt(0)
	v_cmp_eq_u64_e32 vcc, v[5:6], v[7:8]
	v_mov_b32_e32 v8, v6
	s_or_b64 s[10:11], vcc, s[10:11]
	v_mov_b32_e32 v7, v5
	s_andn2_b64 exec, exec, s[10:11]
	s_cbranch_execnz .LBB1_401
.LBB1_402:
	s_or_b64 exec, exec, s[0:1]
	v_readfirstlane_b32 s0, v31
	v_mov_b32_e32 v0, 0
	v_mov_b32_e32 v1, 0
	v_cmp_eq_u32_e64 s[0:1], s0, v31
	s_and_saveexec_b64 s[2:3], s[0:1]
	s_cbranch_execz .LBB1_408
; %bb.403:
	v_mov_b32_e32 v5, 0
	global_load_dwordx2 v[8:9], v5, s[6:7] offset:24 glc
	s_waitcnt vmcnt(0)
	buffer_wbinvl1_vol
	global_load_dwordx2 v[0:1], v5, s[6:7] offset:40
	global_load_dwordx2 v[6:7], v5, s[6:7]
	s_waitcnt vmcnt(1)
	v_and_b32_e32 v0, v0, v8
	v_and_b32_e32 v1, v1, v9
	v_mul_lo_u32 v1, v1, 24
	v_mul_hi_u32 v10, v0, 24
	v_mul_lo_u32 v0, v0, 24
	v_add_u32_e32 v1, v10, v1
	s_waitcnt vmcnt(0)
	v_add_co_u32_e32 v0, vcc, v6, v0
	v_addc_co_u32_e32 v1, vcc, v7, v1, vcc
	global_load_dwordx2 v[6:7], v[0:1], off glc
	s_waitcnt vmcnt(0)
	global_atomic_cmpswap_x2 v[0:1], v5, v[6:9], s[6:7] offset:24 glc
	s_waitcnt vmcnt(0)
	buffer_wbinvl1_vol
	v_cmp_ne_u64_e32 vcc, v[0:1], v[8:9]
	s_and_saveexec_b64 s[10:11], vcc
	s_cbranch_execz .LBB1_407
; %bb.404:
	s_mov_b64 s[12:13], 0
.LBB1_405:                              ; =>This Inner Loop Header: Depth=1
	s_sleep 1
	global_load_dwordx2 v[6:7], v5, s[6:7] offset:40
	global_load_dwordx2 v[10:11], v5, s[6:7]
	v_mov_b32_e32 v9, v1
	v_mov_b32_e32 v8, v0
	s_waitcnt vmcnt(1)
	v_and_b32_e32 v0, v6, v8
	s_waitcnt vmcnt(0)
	v_mad_u64_u32 v[0:1], s[14:15], v0, 24, v[10:11]
	v_and_b32_e32 v6, v7, v9
	v_mad_u64_u32 v[6:7], s[14:15], v6, 24, v[1:2]
	v_mov_b32_e32 v1, v6
	global_load_dwordx2 v[6:7], v[0:1], off glc
	s_waitcnt vmcnt(0)
	global_atomic_cmpswap_x2 v[0:1], v5, v[6:9], s[6:7] offset:24 glc
	s_waitcnt vmcnt(0)
	buffer_wbinvl1_vol
	v_cmp_eq_u64_e32 vcc, v[0:1], v[8:9]
	s_or_b64 s[12:13], vcc, s[12:13]
	s_andn2_b64 exec, exec, s[12:13]
	s_cbranch_execnz .LBB1_405
; %bb.406:
	s_or_b64 exec, exec, s[12:13]
.LBB1_407:
	s_or_b64 exec, exec, s[10:11]
.LBB1_408:
	s_or_b64 exec, exec, s[2:3]
	v_mov_b32_e32 v6, 0
	global_load_dwordx2 v[11:12], v6, s[6:7] offset:40
	global_load_dwordx4 v[7:10], v6, s[6:7]
	v_readfirstlane_b32 s3, v1
	v_readfirstlane_b32 s2, v0
	s_mov_b64 s[10:11], exec
	s_waitcnt vmcnt(1)
	v_readfirstlane_b32 s12, v11
	v_readfirstlane_b32 s13, v12
	s_and_b64 s[12:13], s[12:13], s[2:3]
	s_mul_i32 s9, s13, 24
	s_mul_hi_u32 s14, s12, 24
	s_mul_i32 s15, s12, 24
	s_add_i32 s9, s14, s9
	v_mov_b32_e32 v1, s9
	s_waitcnt vmcnt(0)
	v_add_co_u32_e32 v0, vcc, s15, v7
	v_addc_co_u32_e32 v1, vcc, v8, v1, vcc
	s_and_saveexec_b64 s[14:15], s[0:1]
	s_cbranch_execz .LBB1_410
; %bb.409:
	v_mov_b32_e32 v12, s11
	v_mov_b32_e32 v11, s10
	;; [unrolled: 1-line block ×4, first 2 shown]
	global_store_dwordx4 v[0:1], v[11:14], off offset:8
.LBB1_410:
	s_or_b64 exec, exec, s[14:15]
	s_lshl_b64 s[10:11], s[12:13], 12
	s_add_i32 s9, s8, -1
	v_mov_b32_e32 v5, s11
	v_add_co_u32_e32 v9, vcc, s10, v9
	s_mul_i32 s9, s9, s8
	v_addc_co_u32_e32 v10, vcc, v10, v5, vcc
	s_lshr_b32 s9, s9, 1
	s_movk_i32 s10, 0xff1d
	s_mov_b32 s12, 0
	v_and_or_b32 v3, v3, s10, 34
	v_mov_b32_e32 v5, s9
	v_readfirstlane_b32 s10, v9
	v_readfirstlane_b32 s11, v10
	s_mov_b32 s13, s12
	s_mov_b32 s14, s12
	;; [unrolled: 1-line block ×3, first 2 shown]
	s_nop 1
	global_store_dwordx4 v30, v[3:6], s[10:11]
	s_nop 0
	v_mov_b32_e32 v3, s12
	v_mov_b32_e32 v4, s13
	;; [unrolled: 1-line block ×4, first 2 shown]
	global_store_dwordx4 v30, v[3:6], s[10:11] offset:16
	global_store_dwordx4 v30, v[3:6], s[10:11] offset:32
	;; [unrolled: 1-line block ×3, first 2 shown]
	s_and_saveexec_b64 s[10:11], s[0:1]
	s_cbranch_execz .LBB1_418
; %bb.411:
	v_mov_b32_e32 v9, 0
	global_load_dwordx2 v[12:13], v9, s[6:7] offset:32 glc
	global_load_dwordx2 v[3:4], v9, s[6:7] offset:40
	v_mov_b32_e32 v10, s2
	v_mov_b32_e32 v11, s3
	s_waitcnt vmcnt(0)
	v_readfirstlane_b32 s12, v3
	v_readfirstlane_b32 s13, v4
	s_and_b64 s[12:13], s[12:13], s[2:3]
	s_mul_i32 s9, s13, 24
	s_mul_hi_u32 s13, s12, 24
	s_mul_i32 s12, s12, 24
	s_add_i32 s9, s13, s9
	v_mov_b32_e32 v3, s9
	v_add_co_u32_e32 v7, vcc, s12, v7
	v_addc_co_u32_e32 v8, vcc, v8, v3, vcc
	global_store_dwordx2 v[7:8], v[12:13], off
	s_waitcnt vmcnt(0)
	global_atomic_cmpswap_x2 v[5:6], v9, v[10:13], s[6:7] offset:32 glc
	s_waitcnt vmcnt(0)
	v_cmp_ne_u64_e32 vcc, v[5:6], v[12:13]
	s_and_saveexec_b64 s[12:13], vcc
	s_cbranch_execz .LBB1_414
; %bb.412:
	s_mov_b64 s[14:15], 0
.LBB1_413:                              ; =>This Inner Loop Header: Depth=1
	s_sleep 1
	global_store_dwordx2 v[7:8], v[5:6], off
	v_mov_b32_e32 v3, s2
	v_mov_b32_e32 v4, s3
	s_waitcnt vmcnt(0)
	global_atomic_cmpswap_x2 v[3:4], v9, v[3:6], s[6:7] offset:32 glc
	s_waitcnt vmcnt(0)
	v_cmp_eq_u64_e32 vcc, v[3:4], v[5:6]
	v_mov_b32_e32 v6, v4
	s_or_b64 s[14:15], vcc, s[14:15]
	v_mov_b32_e32 v5, v3
	s_andn2_b64 exec, exec, s[14:15]
	s_cbranch_execnz .LBB1_413
.LBB1_414:
	s_or_b64 exec, exec, s[12:13]
	v_mov_b32_e32 v6, 0
	global_load_dwordx2 v[3:4], v6, s[6:7] offset:16
	s_mov_b64 s[12:13], exec
	v_mbcnt_lo_u32_b32 v5, s12, 0
	v_mbcnt_hi_u32_b32 v5, s13, v5
	v_cmp_eq_u32_e32 vcc, 0, v5
	s_and_saveexec_b64 s[14:15], vcc
	s_cbranch_execz .LBB1_416
; %bb.415:
	s_bcnt1_i32_b64 s9, s[12:13]
	v_mov_b32_e32 v5, s9
	s_waitcnt vmcnt(0)
	global_atomic_add_x2 v[3:4], v[5:6], off offset:8
.LBB1_416:
	s_or_b64 exec, exec, s[14:15]
	s_waitcnt vmcnt(0)
	global_load_dwordx2 v[5:6], v[3:4], off offset:16
	s_waitcnt vmcnt(0)
	v_cmp_eq_u64_e32 vcc, 0, v[5:6]
	s_cbranch_vccnz .LBB1_418
; %bb.417:
	global_load_dword v3, v[3:4], off offset:24
	v_mov_b32_e32 v4, 0
	s_waitcnt vmcnt(0)
	v_readfirstlane_b32 s9, v3
	s_and_b32 m0, s9, 0xffffff
	global_store_dwordx2 v[5:6], v[3:4], off
	s_sendmsg sendmsg(MSG_INTERRUPT)
.LBB1_418:
	s_or_b64 exec, exec, s[10:11]
	s_branch .LBB1_422
.LBB1_419:                              ;   in Loop: Header=BB1_422 Depth=1
	s_or_b64 exec, exec, s[10:11]
	v_readfirstlane_b32 s9, v3
	s_cmp_eq_u32 s9, 0
	s_cbranch_scc1 .LBB1_421
; %bb.420:                              ;   in Loop: Header=BB1_422 Depth=1
	s_sleep 1
	s_cbranch_execnz .LBB1_422
	s_branch .LBB1_424
.LBB1_421:
	s_branch .LBB1_424
.LBB1_422:                              ; =>This Inner Loop Header: Depth=1
	v_mov_b32_e32 v3, 1
	s_and_saveexec_b64 s[10:11], s[0:1]
	s_cbranch_execz .LBB1_419
; %bb.423:                              ;   in Loop: Header=BB1_422 Depth=1
	global_load_dword v3, v[0:1], off offset:20 glc
	s_waitcnt vmcnt(0)
	buffer_wbinvl1_vol
	v_and_b32_e32 v3, 1, v3
	s_branch .LBB1_419
.LBB1_424:
	s_and_saveexec_b64 s[10:11], s[0:1]
	s_cbranch_execz .LBB1_427
; %bb.425:
	v_mov_b32_e32 v7, 0
	global_load_dwordx2 v[0:1], v7, s[6:7] offset:40
	global_load_dwordx2 v[10:11], v7, s[6:7] offset:24 glc
	global_load_dwordx2 v[3:4], v7, s[6:7]
	s_waitcnt vmcnt(2)
	v_readfirstlane_b32 s12, v0
	v_readfirstlane_b32 s13, v1
	s_add_u32 s9, s12, 1
	s_addc_u32 s14, s13, 0
	s_add_u32 s0, s9, s2
	s_addc_u32 s1, s14, s3
	s_cmp_eq_u64 s[0:1], 0
	s_cselect_b32 s1, s14, s1
	s_cselect_b32 s0, s9, s0
	s_and_b64 s[2:3], s[0:1], s[12:13]
	s_mul_i32 s3, s3, 24
	s_mul_hi_u32 s9, s2, 24
	s_mul_i32 s2, s2, 24
	s_add_i32 s3, s9, s3
	v_mov_b32_e32 v1, s3
	s_waitcnt vmcnt(0)
	v_add_co_u32_e32 v0, vcc, s2, v3
	v_addc_co_u32_e32 v1, vcc, v4, v1, vcc
	v_mov_b32_e32 v8, s0
	global_store_dwordx2 v[0:1], v[10:11], off
	v_mov_b32_e32 v9, s1
	s_waitcnt vmcnt(0)
	global_atomic_cmpswap_x2 v[5:6], v7, v[8:11], s[6:7] offset:24 glc
	s_mov_b64 s[2:3], 0
	s_waitcnt vmcnt(0)
	v_cmp_ne_u64_e32 vcc, v[5:6], v[10:11]
	s_and_b64 exec, exec, vcc
	s_cbranch_execz .LBB1_427
.LBB1_426:                              ; =>This Inner Loop Header: Depth=1
	s_sleep 1
	global_store_dwordx2 v[0:1], v[5:6], off
	v_mov_b32_e32 v3, s0
	v_mov_b32_e32 v4, s1
	s_waitcnt vmcnt(0)
	global_atomic_cmpswap_x2 v[3:4], v7, v[3:6], s[6:7] offset:24 glc
	s_waitcnt vmcnt(0)
	v_cmp_eq_u64_e32 vcc, v[3:4], v[5:6]
	v_mov_b32_e32 v6, v4
	s_or_b64 s[2:3], vcc, s[2:3]
	v_mov_b32_e32 v5, v3
	s_andn2_b64 exec, exec, s[2:3]
	s_cbranch_execnz .LBB1_426
.LBB1_427:
	s_or_b64 exec, exec, s[10:11]
	v_cvt_f32_u32_e32 v0, s8
	s_sub_i32 s0, 0, s8
	v_rcp_iflag_f32_e32 v0, v0
	v_mul_f32_e32 v0, 0x4f7ffffe, v0
	v_cvt_u32_f32_e32 v0, v0
	v_mul_lo_u32 v1, s0, v0
	s_load_dwordx2 s[0:1], s[4:5], 0x0
	v_mul_hi_u32 v1, v0, v1
	v_add_u32_e32 v0, v0, v1
	v_mul_hi_u32 v0, v29, v0
	v_mul_lo_u32 v1, v0, s8
	v_add_u32_e32 v3, 1, v0
	v_sub_u32_e32 v1, v29, v1
	v_cmp_le_u32_e32 vcc, s8, v1
	v_cndmask_b32_e32 v0, v0, v3, vcc
	v_subrev_u32_e32 v3, s8, v1
	v_cndmask_b32_e32 v1, v1, v3, vcc
	v_add_u32_e32 v3, 1, v0
	v_cmp_le_u32_e32 vcc, s8, v1
	v_cndmask_b32_e32 v0, v0, v3, vcc
	v_lshlrev_b32_e32 v0, 2, v0
	s_waitcnt lgkmcnt(0)
	global_store_dword v0, v2, s[0:1]
.LBB1_428:
	s_endpgm
	.section	.rodata,"a",@progbits
	.p2align	6, 0x0
	.amdhsa_kernel _Z35kernel_cg_group_partition_shfl_downPiji
		.amdhsa_group_segment_fixed_size 0
		.amdhsa_private_segment_fixed_size 0
		.amdhsa_kernarg_size 272
		.amdhsa_user_sgpr_count 6
		.amdhsa_user_sgpr_private_segment_buffer 1
		.amdhsa_user_sgpr_dispatch_ptr 0
		.amdhsa_user_sgpr_queue_ptr 0
		.amdhsa_user_sgpr_kernarg_segment_ptr 1
		.amdhsa_user_sgpr_dispatch_id 0
		.amdhsa_user_sgpr_flat_scratch_init 0
		.amdhsa_user_sgpr_private_segment_size 0
		.amdhsa_uses_dynamic_stack 0
		.amdhsa_system_sgpr_private_segment_wavefront_offset 0
		.amdhsa_system_sgpr_workgroup_id_x 1
		.amdhsa_system_sgpr_workgroup_id_y 0
		.amdhsa_system_sgpr_workgroup_id_z 0
		.amdhsa_system_sgpr_workgroup_info 0
		.amdhsa_system_vgpr_workitem_id 0
		.amdhsa_next_free_vgpr 36
		.amdhsa_next_free_sgpr 30
		.amdhsa_reserve_vcc 1
		.amdhsa_reserve_flat_scratch 0
		.amdhsa_float_round_mode_32 0
		.amdhsa_float_round_mode_16_64 0
		.amdhsa_float_denorm_mode_32 3
		.amdhsa_float_denorm_mode_16_64 3
		.amdhsa_dx10_clamp 1
		.amdhsa_ieee_mode 1
		.amdhsa_fp16_overflow 0
		.amdhsa_exception_fp_ieee_invalid_op 0
		.amdhsa_exception_fp_denorm_src 0
		.amdhsa_exception_fp_ieee_div_zero 0
		.amdhsa_exception_fp_ieee_overflow 0
		.amdhsa_exception_fp_ieee_underflow 0
		.amdhsa_exception_fp_ieee_inexact 0
		.amdhsa_exception_int_div_zero 0
	.end_amdhsa_kernel
	.text
.Lfunc_end1:
	.size	_Z35kernel_cg_group_partition_shfl_downPiji, .Lfunc_end1-_Z35kernel_cg_group_partition_shfl_downPiji
                                        ; -- End function
	.set _Z35kernel_cg_group_partition_shfl_downPiji.num_vgpr, 36
	.set _Z35kernel_cg_group_partition_shfl_downPiji.num_agpr, 0
	.set _Z35kernel_cg_group_partition_shfl_downPiji.numbered_sgpr, 30
	.set _Z35kernel_cg_group_partition_shfl_downPiji.num_named_barrier, 0
	.set _Z35kernel_cg_group_partition_shfl_downPiji.private_seg_size, 0
	.set _Z35kernel_cg_group_partition_shfl_downPiji.uses_vcc, 1
	.set _Z35kernel_cg_group_partition_shfl_downPiji.uses_flat_scratch, 0
	.set _Z35kernel_cg_group_partition_shfl_downPiji.has_dyn_sized_stack, 0
	.set _Z35kernel_cg_group_partition_shfl_downPiji.has_recursion, 0
	.set _Z35kernel_cg_group_partition_shfl_downPiji.has_indirect_call, 0
	.section	.AMDGPU.csdata,"",@progbits
; Kernel info:
; codeLenInByte = 16336
; TotalNumSgprs: 34
; NumVgprs: 36
; ScratchSize: 0
; MemoryBound: 0
; FloatMode: 240
; IeeeMode: 1
; LDSByteSize: 0 bytes/workgroup (compile time only)
; SGPRBlocks: 4
; VGPRBlocks: 8
; NumSGPRsForWavesPerEU: 34
; NumVGPRsForWavesPerEU: 36
; Occupancy: 7
; WaveLimiterHint : 1
; COMPUTE_PGM_RSRC2:SCRATCH_EN: 0
; COMPUTE_PGM_RSRC2:USER_SGPR: 6
; COMPUTE_PGM_RSRC2:TRAP_HANDLER: 0
; COMPUTE_PGM_RSRC2:TGID_X_EN: 1
; COMPUTE_PGM_RSRC2:TGID_Y_EN: 0
; COMPUTE_PGM_RSRC2:TGID_Z_EN: 0
; COMPUTE_PGM_RSRC2:TIDIG_COMP_CNT: 0
	.section	.AMDGPU.gpr_maximums,"",@progbits
	.set amdgpu.max_num_vgpr, 0
	.set amdgpu.max_num_agpr, 0
	.set amdgpu.max_num_sgpr, 0
	.section	.AMDGPU.csdata,"",@progbits
	.type	.str,@object                    ; @.str
	.section	.rodata.str1.1,"aMS",@progbits,1
.str:
	.asciz	" Creating %d groups, of tile size %d threads:\n\n"
	.size	.str, 48

	.type	.str.1,@object                  ; @.str.1
.str.1:
	.asciz	"   Sum of all ranks 0..%d in this tiledPartition group using shfl_down is %d (expected %d)\n"
	.size	.str.1, 92

	.type	__hip_cuid_773639f08aab69d5,@object ; @__hip_cuid_773639f08aab69d5
	.section	.bss,"aw",@nobits
	.globl	__hip_cuid_773639f08aab69d5
__hip_cuid_773639f08aab69d5:
	.byte	0                               ; 0x0
	.size	__hip_cuid_773639f08aab69d5, 1

	.ident	"AMD clang version 22.0.0git (https://github.com/RadeonOpenCompute/llvm-project roc-7.2.4 26084 f58b06dce1f9c15707c5f808fd002e18c2accf7e)"
	.section	".note.GNU-stack","",@progbits
	.addrsig
	.addrsig_sym __hip_cuid_773639f08aab69d5
	.amdgpu_metadata
---
amdhsa.kernels:
  - .args:
      - .address_space:  global
        .offset:         0
        .size:           8
        .value_kind:     global_buffer
      - .address_space:  global
        .offset:         8
        .size:           8
        .value_kind:     global_buffer
      - .offset:         16
        .size:           4
        .value_kind:     by_value
      - .offset:         20
        .size:           4
        .value_kind:     by_value
      - .offset:         24
        .size:           4
        .value_kind:     hidden_block_count_x
      - .offset:         28
        .size:           4
        .value_kind:     hidden_block_count_y
      - .offset:         32
        .size:           4
        .value_kind:     hidden_block_count_z
      - .offset:         36
        .size:           2
        .value_kind:     hidden_group_size_x
      - .offset:         38
        .size:           2
        .value_kind:     hidden_group_size_y
      - .offset:         40
        .size:           2
        .value_kind:     hidden_group_size_z
      - .offset:         42
        .size:           2
        .value_kind:     hidden_remainder_x
      - .offset:         44
        .size:           2
        .value_kind:     hidden_remainder_y
      - .offset:         46
        .size:           2
        .value_kind:     hidden_remainder_z
      - .offset:         64
        .size:           8
        .value_kind:     hidden_global_offset_x
      - .offset:         72
        .size:           8
        .value_kind:     hidden_global_offset_y
      - .offset:         80
        .size:           8
        .value_kind:     hidden_global_offset_z
      - .offset:         88
        .size:           2
        .value_kind:     hidden_grid_dims
    .group_segment_fixed_size: 0
    .kernarg_segment_align: 8
    .kernarg_segment_size: 280
    .language:       OpenCL C
    .language_version:
      - 2
      - 0
    .max_flat_workgroup_size: 1024
    .name:           _Z16kernel_shfl_downPiS_ii
    .private_segment_fixed_size: 0
    .sgpr_count:     14
    .sgpr_spill_count: 0
    .symbol:         _Z16kernel_shfl_downPiS_ii.kd
    .uniform_work_group_size: 1
    .uses_dynamic_stack: false
    .vgpr_count:     10
    .vgpr_spill_count: 0
    .wavefront_size: 64
  - .args:
      - .address_space:  global
        .offset:         0
        .size:           8
        .value_kind:     global_buffer
      - .offset:         8
        .size:           4
        .value_kind:     by_value
      - .offset:         12
        .size:           4
        .value_kind:     by_value
      - .offset:         16
        .size:           4
        .value_kind:     hidden_block_count_x
      - .offset:         20
        .size:           4
        .value_kind:     hidden_block_count_y
      - .offset:         24
        .size:           4
        .value_kind:     hidden_block_count_z
      - .offset:         28
        .size:           2
        .value_kind:     hidden_group_size_x
      - .offset:         30
        .size:           2
        .value_kind:     hidden_group_size_y
      - .offset:         32
        .size:           2
        .value_kind:     hidden_group_size_z
      - .offset:         34
        .size:           2
        .value_kind:     hidden_remainder_x
      - .offset:         36
        .size:           2
        .value_kind:     hidden_remainder_y
      - .offset:         38
        .size:           2
        .value_kind:     hidden_remainder_z
      - .offset:         56
        .size:           8
        .value_kind:     hidden_global_offset_x
      - .offset:         64
        .size:           8
        .value_kind:     hidden_global_offset_y
      - .offset:         72
        .size:           8
        .value_kind:     hidden_global_offset_z
      - .offset:         80
        .size:           2
        .value_kind:     hidden_grid_dims
      - .offset:         96
        .size:           8
        .value_kind:     hidden_hostcall_buffer
    .group_segment_fixed_size: 0
    .kernarg_segment_align: 8
    .kernarg_segment_size: 272
    .language:       OpenCL C
    .language_version:
      - 2
      - 0
    .max_flat_workgroup_size: 1024
    .name:           _Z35kernel_cg_group_partition_shfl_downPiji
    .private_segment_fixed_size: 0
    .sgpr_count:     34
    .sgpr_spill_count: 0
    .symbol:         _Z35kernel_cg_group_partition_shfl_downPiji.kd
    .uniform_work_group_size: 1
    .uses_dynamic_stack: false
    .vgpr_count:     36
    .vgpr_spill_count: 0
    .wavefront_size: 64
amdhsa.target:   amdgcn-amd-amdhsa--gfx906
amdhsa.version:
  - 1
  - 2
...

	.end_amdgpu_metadata
